;; amdgpu-corpus repo=ROCm/rocFFT kind=compiled arch=gfx1030 opt=O3
	.text
	.amdgcn_target "amdgcn-amd-amdhsa--gfx1030"
	.amdhsa_code_object_version 6
	.protected	bluestein_single_back_len1666_dim1_dp_op_CI_CI ; -- Begin function bluestein_single_back_len1666_dim1_dp_op_CI_CI
	.globl	bluestein_single_back_len1666_dim1_dp_op_CI_CI
	.p2align	8
	.type	bluestein_single_back_len1666_dim1_dp_op_CI_CI,@function
bluestein_single_back_len1666_dim1_dp_op_CI_CI: ; @bluestein_single_back_len1666_dim1_dp_op_CI_CI
; %bb.0:
	s_mov_b64 s[62:63], s[2:3]
	s_mov_b64 s[60:61], s[0:1]
	s_load_dwordx4 s[0:3], s[4:5], 0x28
	v_mul_u32_u24_e32 v1, 0x227, v0
	v_mov_b32_e32 v244, 0
	s_add_u32 s60, s60, s7
	s_addc_u32 s61, s61, 0
	v_lshrrev_b32_e32 v1, 16, v1
	v_add_nc_u32_e32 v243, s6, v1
	s_waitcnt lgkmcnt(0)
	v_cmp_gt_u64_e32 vcc_lo, s[0:1], v[243:244]
	s_and_saveexec_b32 s0, vcc_lo
	s_cbranch_execz .LBB0_15
; %bb.1:
	s_clause 0x1
	s_load_dwordx2 s[12:13], s[4:5], 0x0
	s_load_dwordx2 s[14:15], s[4:5], 0x38
	v_mul_lo_u16 v1, 0x77, v1
	v_sub_nc_u16 v0, v0, v1
	v_and_b32_e32 v242, 0xffff, v0
	v_cmp_gt_u16_e32 vcc_lo, 0x62, v0
	v_lshlrev_b32_e32 v255, 4, v242
	s_and_saveexec_b32 s1, vcc_lo
	s_cbranch_execz .LBB0_3
; %bb.2:
	s_load_dwordx2 s[6:7], s[4:5], 0x18
	s_waitcnt lgkmcnt(0)
	s_clause 0x1
	global_load_dwordx4 v[0:3], v255, s[12:13]
	global_load_dwordx4 v[4:7], v255, s[12:13] offset:1568
	v_add_co_u32 v8, s0, s12, v255
	v_add_co_ci_u32_e64 v9, null, s13, 0, s0
	v_add_co_u32 v10, s0, 0x800, v8
	v_add_co_ci_u32_e64 v11, s0, 0, v9, s0
	v_add_co_u32 v14, s0, 0x1000, v8
	v_add_co_ci_u32_e64 v15, s0, 0, v9, s0
	;; [unrolled: 2-line block ×3, first 2 shown]
	v_add_co_u32 v26, s0, 0x2000, v8
	s_load_dwordx4 s[8:11], s[6:7], 0x0
	v_add_co_ci_u32_e64 v27, s0, 0, v9, s0
	v_add_co_u32 v30, s0, 0x2800, v8
	v_add_co_ci_u32_e64 v31, s0, 0, v9, s0
	v_add_co_u32 v38, s0, 0x3000, v8
	;; [unrolled: 2-line block ×5, first 2 shown]
	s_waitcnt lgkmcnt(0)
	v_mad_u64_u32 v[32:33], null, s10, v243, 0
	v_mad_u64_u32 v[34:35], null, s8, v242, 0
	v_add_co_ci_u32_e64 v55, s0, 0, v9, s0
	s_mul_i32 s6, s9, 0x620
	s_mul_hi_u32 s7, s8, 0x620
	v_mov_b32_e32 v12, v33
	s_add_i32 s7, s7, s6
	v_mov_b32_e32 v13, v35
	v_mad_u64_u32 v[18:19], null, s11, v243, v[12:13]
	v_mad_u64_u32 v[35:36], null, s9, v242, v[13:14]
	s_clause 0x1
	global_load_dwordx4 v[10:13], v[10:11], off offset:1088
	global_load_dwordx4 v[14:17], v[14:15], off offset:608
	v_mov_b32_e32 v33, v18
	s_clause 0x2
	global_load_dwordx4 v[18:21], v[22:23], off offset:128
	global_load_dwordx4 v[22:25], v[22:23], off offset:1696
	;; [unrolled: 1-line block ×3, first 2 shown]
	v_lshlrev_b64 v[34:35], 4, v[34:35]
	v_lshlrev_b64 v[36:37], 4, v[32:33]
	global_load_dwordx4 v[30:33], v[30:31], off offset:736
	v_add_co_u32 v36, s0, s2, v36
	v_add_co_ci_u32_e64 v37, s0, s3, v37, s0
	s_mul_i32 s2, s8, 0x620
	v_add_co_u32 v58, s0, v36, v34
	v_add_co_ci_u32_e64 v59, s0, v37, v35, s0
	s_clause 0x1
	global_load_dwordx4 v[34:37], v[38:39], off offset:256
	global_load_dwordx4 v[38:41], v[38:39], off offset:1824
	v_add_co_u32 v62, s0, v58, s2
	v_add_co_ci_u32_e64 v63, s0, s7, v59, s0
	s_clause 0x1
	global_load_dwordx4 v[42:45], v[42:43], off offset:1344
	global_load_dwordx4 v[46:49], v[46:47], off offset:864
	;; [unrolled: 5-line block ×3, first 2 shown]
	v_add_co_u32 v70, s0, v66, s2
	v_add_co_ci_u32_e64 v71, s0, s7, v67, s0
	s_clause 0x1
	global_load_dwordx4 v[58:61], v[58:59], off
	global_load_dwordx4 v[62:65], v[62:63], off
	v_add_co_u32 v74, s0, v70, s2
	v_add_co_ci_u32_e64 v75, s0, s7, v71, s0
	s_clause 0x1
	global_load_dwordx4 v[66:69], v[66:67], off
	global_load_dwordx4 v[70:73], v[70:71], off
	v_add_co_u32 v78, s0, v74, s2
	v_add_co_ci_u32_e64 v79, s0, s7, v75, s0
	global_load_dwordx4 v[74:77], v[74:75], off
	v_add_co_u32 v82, s0, v78, s2
	v_add_co_ci_u32_e64 v83, s0, s7, v79, s0
	;; [unrolled: 3-line block ×7, first 2 shown]
	v_add_co_u32 v106, s0, v102, s2
	v_add_co_ci_u32_e64 v107, s0, s7, v103, s0
	v_add_co_u32 v110, s0, v106, s2
	v_add_co_ci_u32_e64 v111, s0, s7, v107, s0
	;; [unrolled: 2-line block ×7, first 2 shown]
	v_add_co_u32 v134, s0, v122, s2
	global_load_dwordx4 v[98:101], v[98:99], off
	global_load_dwordx4 v[102:105], v[102:103], off
	global_load_dwordx4 v[106:109], v[106:107], off
	global_load_dwordx4 v[110:113], v[110:111], off
	global_load_dwordx4 v[114:117], v[118:119], off
	v_add_co_ci_u32_e64 v135, s0, s7, v123, s0
	global_load_dwordx4 v[118:121], v[120:121], off offset:1472
	global_load_dwordx4 v[122:125], v[122:123], off
	s_clause 0x1
	global_load_dwordx4 v[126:129], v[126:127], off offset:992
	global_load_dwordx4 v[130:133], v[8:9], off offset:512
	global_load_dwordx4 v[134:137], v[134:135], off
	s_waitcnt vmcnt(19)
	v_mul_f64 v[8:9], v[60:61], v[2:3]
	v_mul_f64 v[2:3], v[58:59], v[2:3]
	s_waitcnt vmcnt(18)
	v_mul_f64 v[138:139], v[64:65], v[6:7]
	v_mul_f64 v[140:141], v[62:63], v[6:7]
	;; [unrolled: 3-line block ×6, first 2 shown]
	v_fma_f64 v[6:7], v[58:59], v[0:1], v[8:9]
	v_fma_f64 v[8:9], v[60:61], v[0:1], -v[2:3]
	v_fma_f64 v[0:1], v[62:63], v[4:5], v[138:139]
	v_fma_f64 v[2:3], v[64:65], v[4:5], -v[140:141]
	s_waitcnt vmcnt(13)
	v_mul_f64 v[4:5], v[84:85], v[28:29]
	v_mul_f64 v[28:29], v[82:83], v[28:29]
	s_waitcnt vmcnt(12)
	v_mul_f64 v[62:63], v[88:89], v[32:33]
	v_mul_f64 v[32:33], v[86:87], v[32:33]
	v_fma_f64 v[58:59], v[66:67], v[10:11], v[142:143]
	v_fma_f64 v[60:61], v[68:69], v[10:11], -v[12:13]
	s_waitcnt vmcnt(11)
	v_mul_f64 v[64:65], v[92:93], v[36:37]
	v_mul_f64 v[36:37], v[90:91], v[36:37]
	v_fma_f64 v[10:11], v[70:71], v[14:15], v[144:145]
	v_fma_f64 v[12:13], v[72:73], v[14:15], -v[16:17]
	v_fma_f64 v[14:15], v[74:75], v[18:19], v[146:147]
	s_waitcnt vmcnt(10)
	v_mul_f64 v[66:67], v[96:97], v[40:41]
	v_mul_f64 v[40:41], v[94:95], v[40:41]
	v_fma_f64 v[16:17], v[76:77], v[18:19], -v[20:21]
	v_fma_f64 v[18:19], v[78:79], v[22:23], v[148:149]
	v_fma_f64 v[20:21], v[80:81], v[22:23], -v[24:25]
	v_fma_f64 v[22:23], v[82:83], v[26:27], v[4:5]
	v_fma_f64 v[24:25], v[84:85], v[26:27], -v[28:29]
	v_fma_f64 v[26:27], v[86:87], v[30:31], v[62:63]
	v_fma_f64 v[28:29], v[88:89], v[30:31], -v[32:33]
	v_fma_f64 v[30:31], v[90:91], v[34:35], v[64:65]
	v_fma_f64 v[32:33], v[92:93], v[34:35], -v[36:37]
	v_fma_f64 v[34:35], v[94:95], v[38:39], v[66:67]
	v_fma_f64 v[36:37], v[96:97], v[38:39], -v[40:41]
	s_waitcnt vmcnt(9)
	v_mul_f64 v[68:69], v[100:101], v[44:45]
	v_mul_f64 v[44:45], v[98:99], v[44:45]
	s_waitcnt vmcnt(8)
	v_mul_f64 v[70:71], v[104:105], v[48:49]
	v_mul_f64 v[48:49], v[102:103], v[48:49]
	;; [unrolled: 3-line block ×7, first 2 shown]
	v_fma_f64 v[38:39], v[98:99], v[42:43], v[68:69]
	v_fma_f64 v[40:41], v[100:101], v[42:43], -v[44:45]
	v_fma_f64 v[42:43], v[102:103], v[46:47], v[70:71]
	v_fma_f64 v[44:45], v[104:105], v[46:47], -v[48:49]
	v_fma_f64 v[46:47], v[106:107], v[50:51], v[72:73]
	v_fma_f64 v[48:49], v[108:109], v[50:51], -v[52:53]
	v_fma_f64 v[50:51], v[110:111], v[54:55], v[74:75]
	v_fma_f64 v[52:53], v[112:113], v[54:55], -v[56:57]
	v_fma_f64 v[54:55], v[114:115], v[118:119], v[76:77]
	v_fma_f64 v[56:57], v[116:117], v[118:119], -v[78:79]
	v_fma_f64 v[62:63], v[122:123], v[126:127], v[80:81]
	v_fma_f64 v[64:65], v[124:125], v[126:127], -v[120:121]
	v_fma_f64 v[66:67], v[134:135], v[130:131], v[128:129]
	v_fma_f64 v[68:69], v[136:137], v[130:131], -v[132:133]
	ds_write_b128 v255, v[6:9]
	ds_write_b128 v255, v[0:3] offset:1568
	ds_write_b128 v255, v[58:61] offset:3136
	;; [unrolled: 1-line block ×16, first 2 shown]
.LBB0_3:
	s_or_b32 exec_lo, exec_lo, s1
	s_clause 0x1
	s_load_dwordx2 s[2:3], s[4:5], 0x20
	s_load_dwordx2 s[0:1], s[4:5], 0x8
	s_waitcnt lgkmcnt(0)
	s_barrier
	buffer_gl0_inv
                                        ; implicit-def: $vgpr12_vgpr13
                                        ; implicit-def: $vgpr60_vgpr61
                                        ; implicit-def: $vgpr64_vgpr65
                                        ; implicit-def: $vgpr68_vgpr69
                                        ; implicit-def: $vgpr72_vgpr73
                                        ; implicit-def: $vgpr76_vgpr77
                                        ; implicit-def: $vgpr56_vgpr57
                                        ; implicit-def: $vgpr52_vgpr53
                                        ; implicit-def: $vgpr40_vgpr41
                                        ; implicit-def: $vgpr48_vgpr49
                                        ; implicit-def: $vgpr44_vgpr45
                                        ; implicit-def: $vgpr36_vgpr37
                                        ; implicit-def: $vgpr32_vgpr33
                                        ; implicit-def: $vgpr28_vgpr29
                                        ; implicit-def: $vgpr24_vgpr25
                                        ; implicit-def: $vgpr20_vgpr21
                                        ; implicit-def: $vgpr16_vgpr17
	s_and_saveexec_b32 s4, vcc_lo
	s_cbranch_execz .LBB0_5
; %bb.4:
	ds_read_b128 v[12:15], v255
	ds_read_b128 v[60:63], v255 offset:1568
	ds_read_b128 v[64:67], v255 offset:3136
	;; [unrolled: 1-line block ×16, first 2 shown]
.LBB0_5:
	s_or_b32 exec_lo, exec_lo, s4
	s_waitcnt lgkmcnt(0)
	v_add_f64 v[144:145], v[62:63], -v[18:19]
	v_add_f64 v[156:157], v[60:61], -v[16:17]
	s_mov_b32 s4, 0x5d8e7cdc
	s_mov_b32 s5, 0xbfd71e95
	v_add_f64 v[142:143], v[60:61], v[16:17]
	v_add_f64 v[84:85], v[66:67], -v[22:23]
	v_add_f64 v[154:155], v[62:63], v[18:19]
	v_add_f64 v[82:83], v[64:65], -v[20:21]
	s_mov_b32 s8, 0x370991
	s_mov_b32 s6, 0x2a9d6da3
	;; [unrolled: 1-line block ×4, first 2 shown]
	v_add_f64 v[80:81], v[64:65], v[20:21]
	v_add_f64 v[90:91], v[70:71], -v[26:27]
	v_add_f64 v[96:97], v[66:67], v[22:23]
	v_add_f64 v[88:89], v[68:69], -v[24:25]
	s_mov_b32 s10, 0x75d4884
	s_mov_b32 s16, 0x7c9e640b
	;; [unrolled: 1-line block ×4, first 2 shown]
	v_add_f64 v[86:87], v[68:69], v[24:25]
	v_add_f64 v[98:99], v[74:75], -v[30:31]
	v_mul_f64 v[146:147], v[144:145], s[4:5]
	v_mul_f64 v[158:159], v[156:157], s[4:5]
	v_add_f64 v[100:101], v[70:71], v[26:27]
	v_add_f64 v[94:95], v[72:73], -v[28:29]
	s_mov_b32 s18, 0x2b2883cd
	v_mul_f64 v[134:135], v[84:85], s[6:7]
	s_mov_b32 s20, 0xeb564b22
	v_mul_f64 v[140:141], v[82:83], s[6:7]
	s_mov_b32 s19, 0x3fdc86fa
	s_mov_b32 s21, 0xbfefdd0d
	v_add_f64 v[92:93], v[72:73], v[28:29]
	v_add_f64 v[102:103], v[74:75], v[30:31]
	v_add_f64 v[112:113], v[78:79], -v[34:35]
	v_mul_f64 v[138:139], v[90:91], s[16:17]
	s_mov_b32 s22, 0x3259b75e
	v_mul_f64 v[150:151], v[88:89], s[16:17]
	s_mov_b32 s34, 0x923c349f
	s_mov_b32 s23, 0x3fb79ee6
	;; [unrolled: 1-line block ×5, first 2 shown]
	v_mul_f64 v[148:149], v[98:99], s[20:21]
	v_fma_f64 v[0:1], v[142:143], s[8:9], v[146:147]
	v_fma_f64 v[2:3], v[154:155], s[8:9], -v[158:159]
	v_add_f64 v[104:105], v[76:77], v[32:33]
	v_mul_f64 v[152:153], v[94:95], s[20:21]
	v_add_f64 v[106:107], v[76:77], -v[32:33]
	v_fma_f64 v[4:5], v[80:81], s[10:11], v[134:135]
	s_mov_b32 s26, 0xc61f0d01
	v_fma_f64 v[6:7], v[96:97], s[10:11], -v[140:141]
	s_mov_b32 s27, 0xbfd183b1
	v_add_f64 v[116:117], v[78:79], v[34:35]
	v_add_f64 v[126:127], v[58:59], -v[38:39]
	s_mov_b32 s30, 0x6c9a05f6
	v_mul_f64 v[160:161], v[112:113], s[28:29]
	v_fma_f64 v[8:9], v[86:87], s[18:19], v[138:139]
	s_mov_b32 s31, 0xbfe9895b
	v_add_f64 v[108:109], v[56:57], v[36:37]
	v_add_f64 v[110:111], v[56:57], -v[36:37]
	s_mov_b32 s24, 0x6ed5f1bb
	s_mov_b32 s25, 0xbfe348c8
	v_add_f64 v[136:137], v[58:59], v[38:39]
	v_add_f64 v[120:121], v[54:55], -v[46:47]
	s_mov_b32 s38, 0x4363dd80
	v_add_f64 v[0:1], v[12:13], v[0:1]
	v_add_f64 v[2:3], v[14:15], v[2:3]
	s_mov_b32 s39, 0x3fe0d888
	s_mov_b32 s47, 0xbfe0d888
	v_mul_f64 v[162:163], v[106:107], s[28:29]
	s_mov_b32 s46, s38
	v_add_f64 v[114:115], v[52:53], v[44:45]
	v_add_f64 v[118:119], v[52:53], -v[44:45]
	s_mov_b32 s36, 0x910ea3b9
	s_mov_b32 s37, 0xbfeb34fa
	v_mul_f64 v[164:165], v[126:127], s[30:31]
	v_add_f64 v[124:125], v[54:55], v[46:47]
	v_add_f64 v[130:131], v[42:43], -v[50:51]
	s_mov_b32 s42, 0xacd6c6b4
	s_mov_b32 s43, 0x3fc7851a
	;; [unrolled: 1-line block ×3, first 2 shown]
	v_mul_f64 v[166:167], v[110:111], s[30:31]
	s_mov_b32 s44, s42
	v_add_f64 v[122:123], v[40:41], v[48:49]
	v_add_f64 v[128:129], v[40:41], -v[48:49]
	v_mul_f64 v[176:177], v[120:121], s[46:47]
	s_mov_b32 s40, 0x7faef3
	v_add_f64 v[0:1], v[4:5], v[0:1]
	v_add_f64 v[2:3], v[6:7], v[2:3]
	v_fma_f64 v[4:5], v[100:101], s[18:19], -v[150:151]
	v_fma_f64 v[6:7], v[92:93], s[22:23], v[148:149]
	s_mov_b32 s41, 0xbfef7484
	v_add_f64 v[132:133], v[42:43], v[50:51]
	v_mul_f64 v[233:234], v[144:145], s[6:7]
	v_mul_f64 v[184:185], v[118:119], s[46:47]
	;; [unrolled: 1-line block ×15, first 2 shown]
	s_mov_b32 s49, 0x3feca52d
	v_add_f64 v[0:1], v[8:9], v[0:1]
	s_mov_b32 s48, s16
	v_add_f64 v[2:3], v[4:5], v[2:3]
	v_fma_f64 v[4:5], v[102:103], s[22:23], -v[152:153]
	v_mul_f64 v[206:207], v[120:121], s[48:49]
	v_mul_f64 v[218:219], v[118:119], s[48:49]
	s_mov_b32 s51, 0x3fd71e95
	s_mov_b32 s50, s4
	v_mul_f64 v[237:238], v[144:145], s[16:17]
	v_mul_f64 v[220:221], v[130:131], s[50:51]
	;; [unrolled: 1-line block ×10, first 2 shown]
	s_mov_b32 s53, 0x3fe58eea
	s_mov_b32 s52, s6
	v_mul_f64 v[172:173], v[126:127], s[4:5]
	v_mul_f64 v[170:171], v[112:113], s[52:53]
	v_add_f64 v[0:1], v[6:7], v[0:1]
	v_mul_f64 v[231:232], v[106:107], s[52:53]
	v_mul_f64 v[180:181], v[110:111], s[4:5]
	v_add_f64 v[2:3], v[4:5], v[2:3]
	v_fma_f64 v[4:5], v[104:105], s[26:27], v[160:161]
	v_mul_f64 v[174:175], v[120:121], s[20:21]
	v_mul_f64 v[182:183], v[118:119], s[20:21]
	;; [unrolled: 1-line block ×4, first 2 shown]
	v_add_f64 v[0:1], v[4:5], v[0:1]
	v_fma_f64 v[4:5], v[116:117], s[26:27], -v[162:163]
	v_add_f64 v[2:3], v[4:5], v[2:3]
	v_fma_f64 v[4:5], v[108:109], s[24:25], v[164:165]
	v_add_f64 v[0:1], v[4:5], v[0:1]
	v_fma_f64 v[4:5], v[136:137], s[24:25], -v[166:167]
	v_add_f64 v[2:3], v[4:5], v[2:3]
	v_fma_f64 v[4:5], v[114:115], s[36:37], v[176:177]
	;; [unrolled: 4-line block ×3, first 2 shown]
	v_add_f64 v[244:245], v[4:5], v[0:1]
	v_fma_f64 v[0:1], v[132:133], s[40:41], -v[194:195]
	v_fma_f64 v[4:5], v[96:97], s[22:23], -v[198:199]
	v_add_f64 v[246:247], v[0:1], v[2:3]
	v_fma_f64 v[0:1], v[142:143], s[10:11], v[233:234]
	v_fma_f64 v[2:3], v[80:81], s[22:23], v[190:191]
	v_add_f64 v[0:1], v[12:13], v[0:1]
	v_add_f64 v[0:1], v[2:3], v[0:1]
	v_fma_f64 v[2:3], v[154:155], s[10:11], -v[235:236]
	v_add_f64 v[2:3], v[14:15], v[2:3]
	v_add_f64 v[2:3], v[4:5], v[2:3]
	v_fma_f64 v[4:5], v[86:87], s[24:25], v[192:193]
	v_add_f64 v[0:1], v[4:5], v[0:1]
	v_fma_f64 v[4:5], v[100:101], s[24:25], -v[208:209]
	v_add_f64 v[2:3], v[4:5], v[2:3]
	v_fma_f64 v[4:5], v[92:93], s[40:41], v[196:197]
	v_add_f64 v[0:1], v[4:5], v[0:1]
	v_fma_f64 v[4:5], v[102:103], s[40:41], -v[210:211]
	;; [unrolled: 4-line block ×6, first 2 shown]
	v_fma_f64 v[4:5], v[96:97], s[24:25], -v[225:226]
	v_add_f64 v[250:251], v[0:1], v[2:3]
	v_fma_f64 v[0:1], v[142:143], s[18:19], v[237:238]
	v_fma_f64 v[2:3], v[80:81], s[24:25], v[200:201]
	v_add_f64 v[0:1], v[12:13], v[0:1]
	v_add_f64 v[0:1], v[2:3], v[0:1]
	v_fma_f64 v[2:3], v[154:155], s[18:19], -v[239:240]
	v_add_f64 v[2:3], v[14:15], v[2:3]
	v_add_f64 v[2:3], v[4:5], v[2:3]
	v_fma_f64 v[4:5], v[86:87], s[40:41], v[214:215]
	v_add_f64 v[0:1], v[4:5], v[0:1]
	v_fma_f64 v[4:5], v[100:101], s[40:41], -v[227:228]
	v_add_f64 v[2:3], v[4:5], v[2:3]
	v_fma_f64 v[4:5], v[92:93], s[26:27], v[168:169]
	v_add_f64 v[0:1], v[4:5], v[0:1]
	v_fma_f64 v[4:5], v[102:103], s[26:27], -v[229:230]
	;; [unrolled: 4-line block ×6, first 2 shown]
	v_add_f64 v[6:7], v[0:1], v[2:3]
	buffer_store_dword v4, off, s[60:63], 0 ; 4-byte Folded Spill
	buffer_store_dword v5, off, s[60:63], 0 offset:4 ; 4-byte Folded Spill
	buffer_store_dword v6, off, s[60:63], 0 offset:8 ; 4-byte Folded Spill
	;; [unrolled: 1-line block ×3, first 2 shown]
	s_waitcnt_vscnt null, 0x0
	s_barrier
	buffer_gl0_inv
	s_and_saveexec_b32 s33, vcc_lo
	s_cbranch_execz .LBB0_7
; %bb.6:
	v_add_f64 v[2:3], v[12:13], v[60:61]
	v_add_f64 v[0:1], v[14:15], v[62:63]
	s_mov_b32 s57, 0x3fefdd0d
	s_mov_b32 s56, s20
	v_mul_f64 v[4:5], v[154:155], s[36:37]
	v_mul_f64 v[8:9], v[154:155], s[24:25]
	s_mov_b32 s55, 0x3fe9895b
	s_mov_b32 s54, s30
	v_add_f64 v[2:3], v[2:3], v[64:65]
	v_add_f64 v[0:1], v[0:1], v[66:67]
	v_mul_f64 v[66:67], v[102:103], s[10:11]
	v_fma_f64 v[6:7], v[156:157], s[38:39], v[4:5]
	v_fma_f64 v[4:5], v[156:157], s[46:47], v[4:5]
	;; [unrolled: 1-line block ×4, first 2 shown]
	v_add_f64 v[2:3], v[2:3], v[68:69]
	v_add_f64 v[0:1], v[0:1], v[70:71]
	v_mul_f64 v[68:69], v[98:99], s[52:53]
	v_mul_f64 v[70:71], v[116:117], s[24:25]
	v_add_f64 v[6:7], v[14:15], v[6:7]
	v_add_f64 v[4:5], v[14:15], v[4:5]
	v_add_f64 v[10:11], v[14:15], v[10:11]
	v_add_f64 v[8:9], v[14:15], v[8:9]
	v_add_f64 v[2:3], v[2:3], v[72:73]
	v_add_f64 v[0:1], v[0:1], v[74:75]
	v_mul_f64 v[72:73], v[112:113], s[30:31]
	v_mul_f64 v[74:75], v[136:137], s[18:19]
	v_add_f64 v[2:3], v[2:3], v[76:77]
	v_add_f64 v[0:1], v[0:1], v[78:79]
	v_mul_f64 v[76:77], v[126:127], s[48:49]
	v_mul_f64 v[78:79], v[124:125], s[26:27]
	v_add_f64 v[2:3], v[2:3], v[56:57]
	v_add_f64 v[0:1], v[0:1], v[58:59]
	v_mul_f64 v[58:59], v[142:143], s[8:9]
	v_add_f64 v[2:3], v[2:3], v[52:53]
	v_add_f64 v[0:1], v[0:1], v[54:55]
	v_add_f64 v[58:59], v[58:59], -v[146:147]
	v_add_f64 v[2:3], v[2:3], v[40:41]
	v_add_f64 v[0:1], v[0:1], v[42:43]
	;; [unrolled: 1-line block ×6, first 2 shown]
	v_mul_f64 v[44:45], v[144:145], s[28:29]
	v_mul_f64 v[46:47], v[144:145], s[20:21]
	v_add_f64 v[2:3], v[2:3], v[36:37]
	v_add_f64 v[0:1], v[0:1], v[38:39]
	v_fma_f64 v[54:55], v[142:143], s[26:27], v[44:45]
	v_fma_f64 v[44:45], v[142:143], s[26:27], -v[44:45]
	v_fma_f64 v[56:57], v[142:143], s[22:23], v[46:47]
	v_fma_f64 v[46:47], v[142:143], s[22:23], -v[46:47]
	v_add_f64 v[2:3], v[2:3], v[32:33]
	v_add_f64 v[0:1], v[0:1], v[34:35]
	;; [unrolled: 1-line block ×6, first 2 shown]
	v_mul_f64 v[30:31], v[144:145], s[30:31]
	v_add_f64 v[2:3], v[2:3], v[24:25]
	v_mul_f64 v[24:25], v[154:155], s[22:23]
	v_add_f64 v[0:1], v[0:1], v[26:27]
	v_mul_f64 v[26:27], v[144:145], s[46:47]
	v_fma_f64 v[52:53], v[142:143], s[24:25], v[30:31]
	v_fma_f64 v[30:31], v[142:143], s[24:25], -v[30:31]
	v_add_f64 v[2:3], v[2:3], v[20:21]
	v_fma_f64 v[28:29], v[156:157], s[56:57], v[24:25]
	v_fma_f64 v[32:33], v[156:157], s[20:21], v[24:25]
	v_mul_f64 v[24:25], v[154:155], s[18:19]
	v_add_f64 v[0:1], v[0:1], v[22:23]
	v_mul_f64 v[20:21], v[154:155], s[26:27]
	v_fma_f64 v[50:51], v[142:143], s[36:37], v[26:27]
	v_fma_f64 v[26:27], v[142:143], s[36:37], -v[26:27]
	v_add_f64 v[52:53], v[12:13], v[52:53]
	v_add_f64 v[64:65], v[12:13], v[30:31]
	;; [unrolled: 1-line block ×6, first 2 shown]
	v_mul_f64 v[24:25], v[142:143], s[18:19]
	v_add_f64 v[18:19], v[0:1], v[18:19]
	v_mul_f64 v[0:1], v[154:155], s[40:41]
	v_fma_f64 v[22:23], v[156:157], s[34:35], v[20:21]
	v_fma_f64 v[20:21], v[156:157], s[28:29], v[20:21]
	v_add_f64 v[62:63], v[12:13], v[26:27]
	v_add_f64 v[26:27], v[12:13], v[54:55]
	;; [unrolled: 1-line block ×4, first 2 shown]
	v_add_f64 v[36:37], v[24:25], -v[237:238]
	v_mul_f64 v[24:25], v[154:155], s[10:11]
	v_fma_f64 v[2:3], v[156:157], s[42:43], v[0:1]
	v_add_f64 v[30:31], v[14:15], v[22:23]
	v_add_f64 v[54:55], v[14:15], v[20:21]
	v_mul_f64 v[20:21], v[96:97], s[8:9]
	v_mul_f64 v[22:23], v[84:85], s[50:51]
	v_fma_f64 v[0:1], v[156:157], s[44:45], v[0:1]
	v_mul_f64 v[156:157], v[136:137], s[26:27]
	v_add_f64 v[36:37], v[12:13], v[36:37]
	v_add_f64 v[38:39], v[235:236], v[24:25]
	v_mul_f64 v[24:25], v[142:143], s[10:11]
	v_add_f64 v[2:3], v[14:15], v[2:3]
	v_add_f64 v[0:1], v[14:15], v[0:1]
	;; [unrolled: 1-line block ×4, first 2 shown]
	v_add_f64 v[40:41], v[24:25], -v[233:234]
	v_mul_f64 v[24:25], v[154:155], s[8:9]
	v_mul_f64 v[154:155], v[104:105], s[36:37]
	v_add_f64 v[40:41], v[12:13], v[40:41]
	v_add_f64 v[42:43], v[158:159], v[24:25]
	v_mul_f64 v[24:25], v[144:145], s[44:45]
	v_mul_f64 v[144:145], v[132:133], s[22:23]
	v_add_f64 v[154:155], v[154:155], -v[202:203]
	v_mul_f64 v[158:159], v[108:109], s[26:27]
	v_add_f64 v[42:43], v[14:15], v[42:43]
	v_fma_f64 v[48:49], v[142:143], s[40:41], v[24:25]
	v_fma_f64 v[24:25], v[142:143], s[40:41], -v[24:25]
	v_mul_f64 v[142:143], v[120:121], s[28:29]
	v_add_f64 v[158:159], v[158:159], -v[204:205]
	v_add_f64 v[48:49], v[12:13], v[48:49]
	v_add_f64 v[60:61], v[12:13], v[24:25]
	v_add_f64 v[24:25], v[12:13], v[56:57]
	v_add_f64 v[56:57], v[12:13], v[58:59]
	v_fma_f64 v[12:13], v[82:83], s[4:5], v[20:21]
	v_mul_f64 v[58:59], v[90:91], s[46:47]
	v_fma_f64 v[20:21], v[82:83], s[50:51], v[20:21]
	v_add_f64 v[2:3], v[12:13], v[2:3]
	v_fma_f64 v[12:13], v[80:81], s[8:9], v[22:23]
	v_add_f64 v[0:1], v[20:21], v[0:1]
	v_fma_f64 v[20:21], v[80:81], s[8:9], -v[22:23]
	v_add_f64 v[12:13], v[12:13], v[48:49]
	v_mul_f64 v[48:49], v[100:101], s[36:37]
	v_add_f64 v[20:21], v[20:21], v[60:61]
	v_mul_f64 v[60:61], v[102:103], s[22:23]
	v_fma_f64 v[14:15], v[88:89], s[38:39], v[48:49]
	v_fma_f64 v[22:23], v[88:89], s[46:47], v[48:49]
	v_mul_f64 v[48:49], v[100:101], s[18:19]
	v_add_f64 v[60:61], v[152:153], v[60:61]
	v_mul_f64 v[152:153], v[116:117], s[36:37]
	v_add_f64 v[2:3], v[14:15], v[2:3]
	v_fma_f64 v[14:15], v[86:87], s[36:37], v[58:59]
	v_add_f64 v[0:1], v[22:23], v[0:1]
	v_fma_f64 v[22:23], v[86:87], s[36:37], -v[58:59]
	v_add_f64 v[48:49], v[150:151], v[48:49]
	v_mul_f64 v[150:151], v[92:93], s[40:41]
	v_mul_f64 v[58:59], v[86:87], s[18:19]
	v_add_f64 v[152:153], v[212:213], v[152:153]
	v_add_f64 v[12:13], v[14:15], v[12:13]
	v_fma_f64 v[14:15], v[94:95], s[6:7], v[66:67]
	v_add_f64 v[20:21], v[22:23], v[20:21]
	v_fma_f64 v[22:23], v[94:95], s[52:53], v[66:67]
	v_add_f64 v[150:151], v[150:151], -v[196:197]
	v_mul_f64 v[196:197], v[96:97], s[18:19]
	v_add_f64 v[58:59], v[58:59], -v[138:139]
	v_mul_f64 v[138:139], v[122:123], s[40:41]
	v_mul_f64 v[66:67], v[92:93], s[22:23]
	v_add_f64 v[2:3], v[14:15], v[2:3]
	v_fma_f64 v[14:15], v[92:93], s[10:11], v[68:69]
	v_add_f64 v[0:1], v[22:23], v[0:1]
	v_fma_f64 v[22:23], v[92:93], s[10:11], -v[68:69]
	v_mul_f64 v[68:69], v[116:117], s[26:27]
	v_add_f64 v[138:139], v[138:139], -v[188:189]
	v_mul_f64 v[188:189], v[102:103], s[26:27]
	v_add_f64 v[66:67], v[66:67], -v[148:149]
	v_mul_f64 v[148:149], v[102:103], s[40:41]
	v_add_f64 v[12:13], v[14:15], v[12:13]
	v_fma_f64 v[14:15], v[106:107], s[54:55], v[70:71]
	v_add_f64 v[20:21], v[22:23], v[20:21]
	v_fma_f64 v[22:23], v[106:107], s[30:31], v[70:71]
	v_add_f64 v[68:69], v[162:163], v[68:69]
	v_mul_f64 v[70:71], v[104:105], s[26:27]
	v_add_f64 v[188:189], v[229:230], v[188:189]
	v_mul_f64 v[162:163], v[114:115], s[18:19]
	v_add_f64 v[148:149], v[210:211], v[148:149]
	v_add_f64 v[2:3], v[14:15], v[2:3]
	v_fma_f64 v[14:15], v[104:105], s[24:25], v[72:73]
	v_add_f64 v[0:1], v[22:23], v[0:1]
	v_fma_f64 v[22:23], v[104:105], s[24:25], -v[72:73]
	v_add_f64 v[70:71], v[70:71], -v[160:161]
	v_mul_f64 v[72:73], v[136:137], s[24:25]
	v_mul_f64 v[160:161], v[124:125], s[18:19]
	v_add_f64 v[162:163], v[162:163], -v[206:207]
	v_add_f64 v[12:13], v[14:15], v[12:13]
	v_fma_f64 v[14:15], v[110:111], s[16:17], v[74:75]
	v_add_f64 v[20:21], v[22:23], v[20:21]
	v_fma_f64 v[22:23], v[110:111], s[48:49], v[74:75]
	v_add_f64 v[72:73], v[166:167], v[72:73]
	v_mul_f64 v[74:75], v[108:109], s[24:25]
	v_add_f64 v[160:161], v[218:219], v[160:161]
	v_mul_f64 v[166:167], v[122:123], s[8:9]
	v_add_f64 v[2:3], v[14:15], v[2:3]
	v_fma_f64 v[14:15], v[108:109], s[18:19], v[76:77]
	v_add_f64 v[0:1], v[22:23], v[0:1]
	v_fma_f64 v[22:23], v[108:109], s[18:19], -v[76:77]
	v_mul_f64 v[76:77], v[124:125], s[36:37]
	v_add_f64 v[74:75], v[74:75], -v[164:165]
	v_mul_f64 v[164:165], v[132:133], s[8:9]
	v_add_f64 v[166:167], v[166:167], -v[220:221]
	v_add_f64 v[12:13], v[14:15], v[12:13]
	v_fma_f64 v[14:15], v[118:119], s[34:35], v[78:79]
	v_add_f64 v[20:21], v[22:23], v[20:21]
	v_fma_f64 v[22:23], v[118:119], s[28:29], v[78:79]
	v_mul_f64 v[78:79], v[114:115], s[36:37]
	v_add_f64 v[76:77], v[184:185], v[76:77]
	v_mul_f64 v[184:185], v[100:101], s[40:41]
	v_add_f64 v[164:165], v[222:223], v[164:165]
	v_add_f64 v[2:3], v[14:15], v[2:3]
	v_fma_f64 v[14:15], v[114:115], s[26:27], v[142:143]
	v_add_f64 v[0:1], v[22:23], v[0:1]
	v_fma_f64 v[22:23], v[114:115], s[26:27], -v[142:143]
	v_add_f64 v[78:79], v[78:79], -v[176:177]
	v_mul_f64 v[176:177], v[96:97], s[24:25]
	v_mul_f64 v[142:143], v[80:81], s[22:23]
	v_add_f64 v[184:185], v[227:228], v[184:185]
	v_add_f64 v[12:13], v[14:15], v[12:13]
	v_fma_f64 v[14:15], v[128:129], s[20:21], v[144:145]
	v_add_f64 v[20:21], v[22:23], v[20:21]
	v_fma_f64 v[22:23], v[128:129], s[56:57], v[144:145]
	v_add_f64 v[176:177], v[225:226], v[176:177]
	v_add_f64 v[142:143], v[142:143], -v[190:191]
	v_mul_f64 v[190:191], v[116:117], s[10:11]
	v_mul_f64 v[144:145], v[100:101], s[24:25]
	v_add_f64 v[14:15], v[14:15], v[2:3]
	v_mul_f64 v[2:3], v[130:131], s[56:57]
	v_add_f64 v[22:23], v[22:23], v[0:1]
	;; [unrolled: 2-line block ×3, first 2 shown]
	v_add_f64 v[190:191], v[231:232], v[190:191]
	v_add_f64 v[40:41], v[142:143], v[40:41]
	;; [unrolled: 1-line block ×3, first 2 shown]
	v_fma_f64 v[146:147], v[122:123], s[22:23], v[2:3]
	v_fma_f64 v[2:3], v[122:123], s[22:23], -v[2:3]
	v_add_f64 v[0:1], v[140:141], v[0:1]
	v_mul_f64 v[140:141], v[96:97], s[22:23]
	v_add_f64 v[34:35], v[184:185], v[34:35]
	v_add_f64 v[12:13], v[146:147], v[12:13]
	;; [unrolled: 1-line block ×3, first 2 shown]
	v_mul_f64 v[2:3], v[80:81], s[10:11]
	v_add_f64 v[140:141], v[198:199], v[140:141]
	v_fma_f64 v[198:199], v[82:83], s[16:17], v[196:197]
	v_add_f64 v[0:1], v[0:1], v[42:43]
	v_mul_f64 v[42:43], v[100:101], s[22:23]
	v_fma_f64 v[196:197], v[82:83], s[48:49], v[196:197]
	v_mul_f64 v[146:147], v[86:87], s[24:25]
	v_add_f64 v[34:35], v[188:189], v[34:35]
	v_add_f64 v[2:3], v[2:3], -v[134:135]
	v_add_f64 v[38:39], v[140:141], v[38:39]
	v_add_f64 v[6:7], v[198:199], v[6:7]
	v_mul_f64 v[198:199], v[84:85], s[48:49]
	v_add_f64 v[0:1], v[48:49], v[0:1]
	v_add_f64 v[4:5], v[196:197], v[4:5]
	v_mul_f64 v[48:49], v[102:103], s[24:25]
	v_add_f64 v[146:147], v[146:147], -v[192:193]
	v_mul_f64 v[192:193], v[80:81], s[24:25]
	v_mul_f64 v[134:135], v[132:133], s[40:41]
	v_add_f64 v[34:35], v[190:191], v[34:35]
	v_add_f64 v[2:3], v[2:3], v[56:57]
	v_fma_f64 v[56:57], v[88:89], s[56:57], v[42:43]
	v_fma_f64 v[42:43], v[88:89], s[20:21], v[42:43]
	v_fma_f64 v[196:197], v[80:81], s[18:19], -v[198:199]
	v_add_f64 v[0:1], v[60:61], v[0:1]
	v_add_f64 v[38:39], v[144:145], v[38:39]
	v_add_f64 v[40:41], v[146:147], v[40:41]
	v_add_f64 v[192:193], v[192:193], -v[200:201]
	v_fma_f64 v[200:201], v[80:81], s[18:19], v[198:199]
	v_add_f64 v[134:135], v[194:195], v[134:135]
	v_mul_f64 v[194:195], v[86:87], s[40:41]
	v_add_f64 v[2:3], v[58:59], v[2:3]
	v_add_f64 v[6:7], v[56:57], v[6:7]
	v_mul_f64 v[56:57], v[90:91], s[20:21]
	v_add_f64 v[4:5], v[42:43], v[4:5]
	v_add_f64 v[62:63], v[196:197], v[62:63]
	v_add_f64 v[0:1], v[68:69], v[0:1]
	v_add_f64 v[38:39], v[148:149], v[38:39]
	v_add_f64 v[40:41], v[150:151], v[40:41]
	v_add_f64 v[36:37], v[192:193], v[36:37]
	v_add_f64 v[50:51], v[200:201], v[50:51]
	v_add_f64 v[194:195], v[194:195], -v[214:215]
	v_add_f64 v[2:3], v[66:67], v[2:3]
	v_fma_f64 v[140:141], v[86:87], s[22:23], v[56:57]
	v_fma_f64 v[42:43], v[86:87], s[22:23], -v[56:57]
	v_fma_f64 v[56:57], v[94:95], s[30:31], v[48:49]
	v_fma_f64 v[48:49], v[94:95], s[54:55], v[48:49]
	v_add_f64 v[0:1], v[72:73], v[0:1]
	v_add_f64 v[38:39], v[152:153], v[38:39]
	;; [unrolled: 1-line block ×8, first 2 shown]
	v_mul_f64 v[56:57], v[98:99], s[54:55]
	v_add_f64 v[4:5], v[48:49], v[4:5]
	v_add_f64 v[0:1], v[76:77], v[0:1]
	;; [unrolled: 1-line block ×5, first 2 shown]
	v_fma_f64 v[48:49], v[92:93], s[24:25], -v[56:57]
	v_fma_f64 v[58:59], v[92:93], s[24:25], v[56:57]
	v_add_f64 v[38:39], v[160:161], v[38:39]
	v_add_f64 v[40:41], v[162:163], v[40:41]
	;; [unrolled: 1-line block ×4, first 2 shown]
	v_mul_f64 v[48:49], v[116:117], s[8:9]
	v_add_f64 v[50:51], v[58:59], v[50:51]
	v_add_f64 v[38:39], v[164:165], v[38:39]
	v_fma_f64 v[56:57], v[106:107], s[50:51], v[48:49]
	v_fma_f64 v[48:49], v[106:107], s[4:5], v[48:49]
	v_add_f64 v[6:7], v[56:57], v[6:7]
	v_mul_f64 v[56:57], v[112:113], s[4:5]
	v_add_f64 v[4:5], v[48:49], v[4:5]
	v_fma_f64 v[48:49], v[104:105], s[8:9], -v[56:57]
	v_fma_f64 v[58:59], v[104:105], s[8:9], v[56:57]
	v_add_f64 v[42:43], v[48:49], v[42:43]
	v_mul_f64 v[48:49], v[136:137], s[40:41]
	v_add_f64 v[50:51], v[58:59], v[50:51]
	v_fma_f64 v[56:57], v[110:111], s[42:43], v[48:49]
	v_fma_f64 v[48:49], v[110:111], s[44:45], v[48:49]
	v_add_f64 v[6:7], v[56:57], v[6:7]
	v_mul_f64 v[56:57], v[126:127], s[44:45]
	v_add_f64 v[4:5], v[48:49], v[4:5]
	v_fma_f64 v[48:49], v[108:109], s[40:41], -v[56:57]
	v_fma_f64 v[58:59], v[108:109], s[40:41], v[56:57]
	v_add_f64 v[42:43], v[48:49], v[42:43]
	v_mul_f64 v[48:49], v[124:125], s[10:11]
	v_add_f64 v[50:51], v[58:59], v[50:51]
	v_fma_f64 v[56:57], v[118:119], s[6:7], v[48:49]
	v_fma_f64 v[48:49], v[118:119], s[52:53], v[48:49]
	v_add_f64 v[6:7], v[56:57], v[6:7]
	v_mul_f64 v[56:57], v[120:121], s[52:53]
	v_add_f64 v[4:5], v[48:49], v[4:5]
	v_fma_f64 v[48:49], v[114:115], s[10:11], -v[56:57]
	v_fma_f64 v[58:59], v[114:115], s[10:11], v[56:57]
	v_mul_f64 v[56:57], v[104:105], s[10:11]
	v_add_f64 v[42:43], v[48:49], v[42:43]
	v_mul_f64 v[48:49], v[92:93], s[26:27]
	v_add_f64 v[56:57], v[56:57], -v[170:171]
	v_add_f64 v[50:51], v[58:59], v[50:51]
	v_mul_f64 v[58:59], v[108:109], s[8:9]
	v_add_f64 v[48:49], v[48:49], -v[168:169]
	v_add_f64 v[58:59], v[58:59], -v[172:173]
	v_add_f64 v[36:37], v[48:49], v[36:37]
	v_mul_f64 v[48:49], v[136:137], s[8:9]
	v_add_f64 v[36:37], v[56:57], v[36:37]
	v_add_f64 v[48:49], v[180:181], v[48:49]
	v_mul_f64 v[56:57], v[124:125], s[22:23]
	v_add_f64 v[36:37], v[58:59], v[36:37]
	v_add_f64 v[34:35], v[48:49], v[34:35]
	;; [unrolled: 1-line block ×3, first 2 shown]
	v_mul_f64 v[48:49], v[114:115], s[22:23]
	v_mul_f64 v[58:59], v[132:133], s[36:37]
	v_add_f64 v[56:57], v[56:57], v[34:35]
	v_mul_f64 v[34:35], v[122:123], s[36:37]
	v_add_f64 v[48:49], v[48:49], -v[174:175]
	v_add_f64 v[58:59], v[186:187], v[58:59]
	v_add_f64 v[60:61], v[34:35], -v[178:179]
	v_mul_f64 v[34:35], v[96:97], s[40:41]
	v_add_f64 v[48:49], v[48:49], v[36:37]
	v_fma_f64 v[36:37], v[82:83], s[44:45], v[34:35]
	v_fma_f64 v[34:35], v[82:83], s[42:43], v[34:35]
	v_add_f64 v[32:33], v[36:37], v[32:33]
	v_mul_f64 v[36:37], v[100:101], s[26:27]
	v_add_f64 v[28:29], v[34:35], v[28:29]
	v_fma_f64 v[62:63], v[88:89], s[34:35], v[36:37]
	v_fma_f64 v[36:37], v[88:89], s[28:29], v[36:37]
	v_add_f64 v[32:33], v[62:63], v[32:33]
	v_mul_f64 v[62:63], v[84:85], s[44:45]
	v_add_f64 v[28:29], v[36:37], v[28:29]
	v_fma_f64 v[66:67], v[80:81], s[40:41], -v[62:63]
	v_add_f64 v[46:47], v[66:67], v[46:47]
	v_mul_f64 v[66:67], v[102:103], s[8:9]
	v_fma_f64 v[68:69], v[94:95], s[50:51], v[66:67]
	v_add_f64 v[32:33], v[68:69], v[32:33]
	v_mul_f64 v[68:69], v[90:91], s[34:35]
	v_fma_f64 v[70:71], v[86:87], s[26:27], -v[68:69]
	v_add_f64 v[46:47], v[70:71], v[46:47]
	v_mul_f64 v[70:71], v[98:99], s[50:51]
	v_fma_f64 v[72:73], v[92:93], s[8:9], -v[70:71]
	v_add_f64 v[46:47], v[72:73], v[46:47]
	v_mul_f64 v[72:73], v[116:117], s[18:19]
	v_fma_f64 v[74:75], v[106:107], s[16:17], v[72:73]
	v_add_f64 v[32:33], v[74:75], v[32:33]
	v_mul_f64 v[74:75], v[112:113], s[16:17]
	v_fma_f64 v[76:77], v[104:105], s[18:19], -v[74:75]
	v_add_f64 v[46:47], v[76:77], v[46:47]
	v_mul_f64 v[76:77], v[136:137], s[36:37]
	v_fma_f64 v[78:79], v[110:111], s[46:47], v[76:77]
	v_add_f64 v[32:33], v[78:79], v[32:33]
	v_mul_f64 v[78:79], v[126:127], s[46:47]
	v_fma_f64 v[140:141], v[108:109], s[36:37], -v[78:79]
	v_fma_f64 v[78:79], v[108:109], s[36:37], v[78:79]
	v_add_f64 v[46:47], v[140:141], v[46:47]
	v_mul_f64 v[140:141], v[124:125], s[24:25]
	v_fma_f64 v[142:143], v[118:119], s[54:55], v[140:141]
	v_add_f64 v[142:143], v[142:143], v[32:33]
	v_mul_f64 v[32:33], v[120:121], s[54:55]
	v_fma_f64 v[144:145], v[114:115], s[24:25], -v[32:33]
	v_fma_f64 v[32:33], v[114:115], s[24:25], v[32:33]
	v_add_f64 v[144:145], v[144:145], v[46:47]
	v_mul_f64 v[46:47], v[96:97], s[36:37]
	v_mul_f64 v[96:97], v[96:97], s[26:27]
	v_fma_f64 v[146:147], v[82:83], s[38:39], v[46:47]
	v_fma_f64 v[46:47], v[82:83], s[46:47], v[46:47]
	v_add_f64 v[54:55], v[146:147], v[54:55]
	v_mul_f64 v[146:147], v[100:101], s[10:11]
	v_mul_f64 v[100:101], v[100:101], s[8:9]
	v_add_f64 v[30:31], v[46:47], v[30:31]
	v_fma_f64 v[148:149], v[88:89], s[52:53], v[146:147]
	v_fma_f64 v[46:47], v[88:89], s[6:7], v[146:147]
	v_add_f64 v[54:55], v[148:149], v[54:55]
	v_mul_f64 v[148:149], v[102:103], s[18:19]
	v_mul_f64 v[102:103], v[102:103], s[36:37]
	v_add_f64 v[30:31], v[46:47], v[30:31]
	v_fma_f64 v[150:151], v[94:95], s[16:17], v[148:149]
	v_fma_f64 v[46:47], v[94:95], s[48:49], v[148:149]
	v_add_f64 v[54:55], v[150:151], v[54:55]
	v_mul_f64 v[150:151], v[84:85], s[38:39]
	v_add_f64 v[30:31], v[46:47], v[30:31]
	v_mul_f64 v[84:85], v[84:85], s[34:35]
	v_fma_f64 v[152:153], v[80:81], s[36:37], -v[150:151]
	v_add_f64 v[44:45], v[152:153], v[44:45]
	v_mul_f64 v[152:153], v[116:117], s[40:41]
	v_mul_f64 v[116:117], v[116:117], s[22:23]
	v_fma_f64 v[154:155], v[106:107], s[44:45], v[152:153]
	v_fma_f64 v[46:47], v[106:107], s[42:43], v[152:153]
	v_add_f64 v[54:55], v[154:155], v[54:55]
	v_mul_f64 v[154:155], v[90:91], s[52:53]
	v_add_f64 v[30:31], v[46:47], v[30:31]
	v_fma_f64 v[46:47], v[80:81], s[36:37], v[150:151]
	v_mul_f64 v[90:91], v[90:91], s[4:5]
	v_fma_f64 v[156:157], v[86:87], s[10:11], -v[154:155]
	v_fma_f64 v[34:35], v[86:87], s[10:11], v[154:155]
	v_add_f64 v[26:27], v[46:47], v[26:27]
	v_fma_f64 v[46:47], v[80:81], s[40:41], v[62:63]
	v_add_f64 v[44:45], v[156:157], v[44:45]
	v_mul_f64 v[156:157], v[136:137], s[22:23]
	v_mul_f64 v[136:137], v[136:137], s[10:11]
	v_add_f64 v[26:27], v[34:35], v[26:27]
	v_fma_f64 v[34:35], v[86:87], s[26:27], v[68:69]
	v_add_f64 v[24:25], v[46:47], v[24:25]
	v_fma_f64 v[46:47], v[94:95], s[4:5], v[66:67]
	v_mul_f64 v[68:69], v[132:133], s[26:27]
	v_fma_f64 v[66:67], v[110:111], s[38:39], v[76:77]
	v_mul_f64 v[76:77], v[120:121], s[44:45]
	v_fma_f64 v[158:159], v[110:111], s[56:57], v[156:157]
	v_fma_f64 v[62:63], v[110:111], s[20:21], v[156:157]
	v_add_f64 v[24:25], v[34:35], v[24:25]
	v_fma_f64 v[34:35], v[92:93], s[8:9], v[70:71]
	v_add_f64 v[28:29], v[46:47], v[28:29]
	v_add_f64 v[54:55], v[158:159], v[54:55]
	v_mul_f64 v[158:159], v[98:99], s[16:17]
	v_mul_f64 v[98:99], v[98:99], s[46:47]
	v_add_f64 v[30:31], v[62:63], v[30:31]
	v_mul_f64 v[62:63], v[132:133], s[10:11]
	v_add_f64 v[24:25], v[34:35], v[24:25]
	v_fma_f64 v[34:35], v[110:111], s[52:53], v[136:137]
	v_fma_f64 v[160:161], v[92:93], s[18:19], -v[158:159]
	v_fma_f64 v[36:37], v[92:93], s[18:19], v[158:159]
	v_add_f64 v[44:45], v[160:161], v[44:45]
	v_mul_f64 v[160:161], v[112:113], s[44:45]
	v_mul_f64 v[112:113], v[112:113], s[56:57]
	v_add_f64 v[26:27], v[36:37], v[26:27]
	v_fma_f64 v[36:37], v[106:107], s[48:49], v[72:73]
	v_fma_f64 v[162:163], v[104:105], s[40:41], -v[160:161]
	v_fma_f64 v[46:47], v[104:105], s[40:41], v[160:161]
	v_add_f64 v[28:29], v[36:37], v[28:29]
	v_mul_f64 v[36:37], v[120:121], s[4:5]
	v_add_f64 v[44:45], v[162:163], v[44:45]
	v_mul_f64 v[162:163], v[124:125], s[8:9]
	v_add_f64 v[26:27], v[46:47], v[26:27]
	v_fma_f64 v[46:47], v[104:105], s[18:19], v[74:75]
	v_mul_f64 v[74:75], v[124:125], s[40:41]
	v_add_f64 v[28:29], v[66:67], v[28:29]
	v_fma_f64 v[66:67], v[114:115], s[40:41], -v[76:77]
	v_fma_f64 v[76:77], v[114:115], s[40:41], v[76:77]
	v_fma_f64 v[168:169], v[118:119], s[4:5], v[162:163]
	v_add_f64 v[24:25], v[46:47], v[24:25]
	v_fma_f64 v[46:47], v[118:119], s[44:45], v[74:75]
	v_fma_f64 v[74:75], v[118:119], s[42:43], v[74:75]
	v_add_f64 v[54:55], v[168:169], v[54:55]
	v_mul_f64 v[168:169], v[126:127], s[56:57]
	v_mul_f64 v[126:127], v[126:127], s[6:7]
	v_fma_f64 v[170:171], v[108:109], s[22:23], -v[168:169]
	v_fma_f64 v[70:71], v[108:109], s[10:11], v[126:127]
	v_fma_f64 v[72:73], v[108:109], s[22:23], v[168:169]
	v_add_f64 v[44:45], v[170:171], v[44:45]
	v_fma_f64 v[170:171], v[82:83], s[34:35], v[96:97]
	v_fma_f64 v[96:97], v[82:83], s[28:29], v[96:97]
	v_fma_f64 v[82:83], v[114:115], s[8:9], -v[36:37]
	v_add_f64 v[72:73], v[72:73], v[26:27]
	v_fma_f64 v[36:37], v[114:115], s[8:9], v[36:37]
	v_add_f64 v[8:9], v[170:171], v[8:9]
	v_fma_f64 v[170:171], v[88:89], s[4:5], v[100:101]
	;; [unrolled: 2-line block ×3, first 2 shown]
	v_mul_f64 v[88:89], v[132:133], s[24:25]
	v_add_f64 v[72:73], v[36:37], v[72:73]
	v_add_f64 v[36:37], v[166:167], v[40:41]
	;; [unrolled: 1-line block ×4, first 2 shown]
	v_fma_f64 v[170:171], v[94:95], s[46:47], v[102:103]
	v_add_f64 v[10:11], v[96:97], v[10:11]
	v_fma_f64 v[96:97], v[94:95], s[38:39], v[102:103]
	v_mul_f64 v[94:95], v[130:131], s[48:49]
	v_add_f64 v[8:9], v[170:171], v[8:9]
	v_fma_f64 v[170:171], v[106:107], s[56:57], v[116:117]
	v_add_f64 v[10:11], v[96:97], v[10:11]
	v_fma_f64 v[96:97], v[106:107], s[20:21], v[116:117]
	;; [unrolled: 2-line block ×4, first 2 shown]
	v_add_f64 v[8:9], v[170:171], v[8:9]
	v_fma_f64 v[170:171], v[80:81], s[26:27], -v[84:85]
	v_fma_f64 v[84:85], v[80:81], s[26:27], v[84:85]
	v_add_f64 v[10:11], v[34:35], v[10:11]
	v_fma_f64 v[34:35], v[128:129], s[34:35], v[68:69]
	v_mul_f64 v[80:81], v[130:131], s[52:53]
	v_add_f64 v[8:9], v[46:47], v[8:9]
	v_add_f64 v[64:65], v[170:171], v[64:65]
	;; [unrolled: 1-line block ×3, first 2 shown]
	v_fma_f64 v[84:85], v[86:87], s[8:9], v[90:91]
	v_fma_f64 v[170:171], v[86:87], s[8:9], -v[90:91]
	v_mul_f64 v[90:91], v[130:131], s[30:31]
	v_fma_f64 v[86:87], v[118:119], s[30:31], v[140:141]
	v_add_f64 v[26:27], v[34:35], v[6:7]
	v_add_f64 v[6:7], v[78:79], v[24:25]
	v_fma_f64 v[34:35], v[128:129], s[28:29], v[68:69]
	v_fma_f64 v[78:79], v[122:123], s[10:11], -v[80:81]
	v_add_f64 v[10:11], v[74:75], v[10:11]
	v_fma_f64 v[80:81], v[122:123], s[10:11], v[80:81]
	v_add_f64 v[52:53], v[84:85], v[52:53]
	v_fma_f64 v[84:85], v[92:93], s[36:37], v[98:99]
	v_add_f64 v[64:65], v[170:171], v[64:65]
	v_fma_f64 v[170:171], v[92:93], s[36:37], -v[98:99]
	v_mul_f64 v[92:93], v[132:133], s[18:19]
	v_fma_f64 v[74:75], v[122:123], s[24:25], -v[90:91]
	v_fma_f64 v[90:91], v[122:123], s[24:25], v[90:91]
	v_add_f64 v[86:87], v[86:87], v[28:29]
	v_add_f64 v[6:7], v[32:33], v[6:7]
	;; [unrolled: 1-line block ×4, first 2 shown]
	v_fma_f64 v[84:85], v[104:105], s[22:23], v[112:113]
	v_add_f64 v[64:65], v[170:171], v[64:65]
	v_fma_f64 v[170:171], v[104:105], s[22:23], -v[112:113]
	v_add_f64 v[60:61], v[90:91], v[72:73]
	v_add_f64 v[52:53], v[84:85], v[52:53]
	v_fma_f64 v[84:85], v[118:119], s[50:51], v[162:163]
	v_add_f64 v[64:65], v[170:171], v[64:65]
	v_fma_f64 v[170:171], v[108:109], s[10:11], -v[126:127]
	v_add_f64 v[52:53], v[70:71], v[52:53]
	v_mul_f64 v[70:71], v[130:131], s[28:29]
	v_add_f64 v[64:65], v[170:171], v[64:65]
	v_add_f64 v[76:77], v[76:77], v[52:53]
	v_fma_f64 v[68:69], v[122:123], s[26:27], -v[70:71]
	v_fma_f64 v[24:25], v[122:123], s[26:27], v[70:71]
	v_add_f64 v[70:71], v[82:83], v[44:45]
	v_fma_f64 v[44:45], v[128:129], s[52:53], v[62:63]
	v_add_f64 v[64:65], v[66:67], v[64:65]
	v_fma_f64 v[66:67], v[128:129], s[30:31], v[88:89]
	v_fma_f64 v[52:53], v[128:129], s[48:49], v[92:93]
	v_add_f64 v[82:83], v[84:85], v[30:31]
	v_fma_f64 v[84:85], v[122:123], s[18:19], -v[94:95]
	v_fma_f64 v[92:93], v[128:129], s[16:17], v[92:93]
	v_fma_f64 v[94:95], v[122:123], s[18:19], v[94:95]
	;; [unrolled: 1-line block ×3, first 2 shown]
	v_add_f64 v[30:31], v[34:35], v[4:5]
	v_add_f64 v[34:35], v[134:135], v[0:1]
	v_mul_lo_u16 v0, v242, 17
	v_mov_b32_e32 v1, 4
	v_lshlrev_b32_sdwa v0, v1, v0 dst_sel:DWORD dst_unused:UNUSED_PAD src0_sel:DWORD src1_sel:WORD_0
	v_add_f64 v[28:29], v[68:69], v[42:43]
	v_add_f64 v[42:43], v[58:59], v[56:57]
	v_add_f64 v[24:25], v[24:25], v[50:51]
	v_add_f64 v[46:47], v[44:45], v[142:143]
	v_add_f64 v[44:45], v[78:79], v[144:145]
	v_add_f64 v[50:51], v[66:67], v[54:55]
	v_add_f64 v[48:49], v[74:75], v[70:71]
	v_add_f64 v[54:55], v[52:53], v[8:9]
	v_add_f64 v[52:53], v[84:85], v[64:65]
	v_add_f64 v[58:59], v[92:93], v[10:11]
	v_add_f64 v[56:57], v[94:95], v[76:77]
	v_add_f64 v[62:63], v[88:89], v[82:83]
	v_add_f64 v[66:67], v[96:97], v[86:87]
	v_add_f64 v[64:65], v[80:81], v[6:7]
	ds_write_b128 v0, v[16:19]
	ds_write_b128 v0, v[32:35] offset:16
	ds_write_b128 v0, v[36:39] offset:32
	ds_write_b128 v0, v[40:43] offset:48
	ds_write_b128 v0, v[44:47] offset:64
	ds_write_b128 v0, v[48:51] offset:80
	ds_write_b128 v0, v[52:55] offset:96
	ds_write_b128 v0, v[28:31] offset:112
	ds_write_b128 v0, v[20:23] offset:128
	ds_write_b128 v0, v[12:15] offset:144
	ds_write_b128 v0, v[24:27] offset:160
	ds_write_b128 v0, v[56:59] offset:176
	ds_write_b128 v0, v[60:63] offset:192
	ds_write_b128 v0, v[64:67] offset:208
	s_clause 0x3
	buffer_load_dword v1, off, s[60:63], 0
	buffer_load_dword v2, off, s[60:63], 0 offset:4
	buffer_load_dword v3, off, s[60:63], 0 offset:8
	buffer_load_dword v4, off, s[60:63], 0 offset:12
	s_waitcnt vmcnt(0)
	ds_write_b128 v0, v[1:4] offset:224
	ds_write_b128 v0, v[248:251] offset:240
	;; [unrolled: 1-line block ×3, first 2 shown]
.LBB0_7:
	s_or_b32 exec_lo, exec_lo, s33
	v_add_nc_u16 v41, v242, 0x77
	v_and_b32_e32 v0, 0xff, v242
	v_mov_b32_e32 v6, 0xf0f1
	v_add_co_u32 v2, null, 0x1dc, v242
	v_and_b32_e32 v1, 0xff, v41
	v_mul_lo_u16 v28, 0xf1, v0
	v_add_co_u32 v0, null, 0xee, v242
	v_add_co_u32 v5, null, 0x253, v242
	v_mul_lo_u16 v44, 0xf1, v1
	v_lshrrev_b16 v29, 12, v28
	v_add_co_u32 v1, null, 0x165, v242
	v_mul_u32_u24_sdwa v8, v0, v6 dst_sel:DWORD dst_unused:UNUSED_PAD src0_sel:WORD_0 src1_sel:DWORD
	v_lshrrev_b16 v42, 12, v44
	v_mul_lo_u16 v3, v29, 17
	v_add_co_u32 v7, null, 0x2ca, v242
	v_mul_u32_u24_sdwa v9, v1, v6 dst_sel:DWORD dst_unused:UNUSED_PAD src0_sel:WORD_0 src1_sel:DWORD
	v_mul_lo_u16 v4, v42, 17
	v_sub_nc_u16 v3, v242, v3
	v_lshrrev_b32_e32 v30, 20, v8
	v_mov_b32_e32 v40, 4
	v_lshrrev_b32_e32 v31, 20, v9
	v_sub_nc_u16 v4, v41, v4
	v_and_b32_e32 v45, 0xff, v3
	v_mul_u32_u24_sdwa v3, v2, v6 dst_sel:DWORD dst_unused:UNUSED_PAD src0_sel:WORD_0 src1_sel:DWORD
	v_mul_lo_u16 v9, v30, 17
	s_load_dwordx4 s[4:7], s[2:3], 0x0
	v_and_b32_e32 v43, 0xff, v4
	v_mul_u32_u24_sdwa v4, v5, v6 dst_sel:DWORD dst_unused:UNUSED_PAD src0_sel:WORD_0 src1_sel:DWORD
	v_mul_u32_u24_sdwa v6, v7, v6 dst_sel:DWORD dst_unused:UNUSED_PAD src0_sel:WORD_0 src1_sel:DWORD
	v_lshrrev_b32_e32 v32, 20, v3
	v_sub_nc_u16 v34, v0, v9
	v_mul_lo_u16 v0, v31, 17
	v_lshrrev_b32_e32 v33, 20, v4
	v_lshrrev_b32_e32 v35, 20, v6
	v_mul_lo_u16 v3, v32, 17
	v_lshlrev_b32_e32 v8, 4, v45
	v_sub_nc_u16 v36, v1, v0
	v_mul_lo_u16 v4, v33, 17
	v_mul_lo_u16 v0, v35, 17
	v_sub_nc_u16 v37, v2, v3
	v_lshlrev_b32_sdwa v6, v40, v34 dst_sel:DWORD dst_unused:UNUSED_PAD src0_sel:DWORD src1_sel:WORD_0
	v_lshlrev_b32_sdwa v1, v40, v36 dst_sel:DWORD dst_unused:UNUSED_PAD src0_sel:DWORD src1_sel:WORD_0
	v_sub_nc_u16 v38, v5, v4
	v_sub_nc_u16 v39, v7, v0
	v_lshlrev_b32_e32 v10, 4, v43
	v_lshlrev_b32_sdwa v0, v40, v37 dst_sel:DWORD dst_unused:UNUSED_PAD src0_sel:DWORD src1_sel:WORD_0
	s_waitcnt lgkmcnt(0)
	v_lshlrev_b32_sdwa v2, v40, v38 dst_sel:DWORD dst_unused:UNUSED_PAD src0_sel:DWORD src1_sel:WORD_0
	s_barrier
	buffer_gl0_inv
	s_clause 0x3
	global_load_dwordx4 v[111:114], v8, s[0:1]
	global_load_dwordx4 v[107:110], v10, s[0:1]
	;; [unrolled: 1-line block ×4, first 2 shown]
	v_lshlrev_b32_sdwa v1, v40, v39 dst_sel:DWORD dst_unused:UNUSED_PAD src0_sel:DWORD src1_sel:WORD_0
	s_clause 0x2
	global_load_dwordx4 v[131:134], v0, s[0:1]
	global_load_dwordx4 v[123:126], v2, s[0:1]
	;; [unrolled: 1-line block ×3, first 2 shown]
	v_lshlrev_b32_sdwa v225, v40, v242 dst_sel:DWORD dst_unused:UNUSED_PAD src0_sel:DWORD src1_sel:WORD_0
	ds_read_b128 v[46:49], v225 offset:17136
	ds_read_b128 v[50:53], v225 offset:13328
	;; [unrolled: 1-line block ×7, first 2 shown]
	ds_read_b128 v[74:77], v225
	ds_read_b128 v[78:81], v225 offset:1904
	ds_read_b128 v[82:85], v225 offset:11424
	;; [unrolled: 1-line block ×6, first 2 shown]
	v_lshrrev_b16 v88, 13, v28
	v_mul_lo_u16 v28, v29, 34
	v_lshrrev_b16 v90, 13, v44
	v_mov_b32_e32 v86, 34
	v_mad_u16 v30, v30, 34, v34
	v_mul_lo_u16 v29, v88, 34
	v_and_b32_e32 v28, 0xfe, v28
	v_mul_lo_u16 v44, v90, 34
	v_mul_u32_u24_sdwa v42, v42, v86 dst_sel:DWORD dst_unused:UNUSED_PAD src0_sel:WORD_0 src1_sel:DWORD
	v_mad_u16 v31, v31, 34, v36
	v_sub_nc_u16 v29, v242, v29
	v_mad_u16 v32, v32, 34, v37
	s_mov_b32 s16, 0x37e14327
	s_mov_b32 s2, 0x36b3c0b5
	;; [unrolled: 1-line block ×3, first 2 shown]
	v_and_b32_e32 v89, 0xff, v29
	s_mov_b32 s17, 0x3fe948f6
	s_mov_b32 s3, 0x3fac98ee
	;; [unrolled: 1-line block ×17, first 2 shown]
	v_lshlrev_b32_e32 v226, 4, v242
	s_waitcnt vmcnt(6) lgkmcnt(12)
	v_mul_f64 v[2:3], v[52:53], v[113:114]
	s_waitcnt vmcnt(5) lgkmcnt(11)
	v_mul_f64 v[6:7], v[56:57], v[109:110]
	s_waitcnt vmcnt(4)
	v_mul_f64 v[0:1], v[48:49], v[117:118]
	s_waitcnt vmcnt(3) lgkmcnt(10)
	v_mul_f64 v[12:13], v[60:61], v[129:130]
	v_mul_f64 v[4:5], v[50:51], v[113:114]
	s_waitcnt vmcnt(2) lgkmcnt(9)
	v_mul_f64 v[16:17], v[64:65], v[133:134]
	s_waitcnt vmcnt(1) lgkmcnt(8)
	;; [unrolled: 2-line block ×3, first 2 shown]
	v_mul_f64 v[24:25], v[72:73], v[121:122]
	v_mul_f64 v[8:9], v[54:55], v[109:110]
	;; [unrolled: 1-line block ×7, first 2 shown]
	v_fma_f64 v[2:3], v[50:51], v[111:112], -v[2:3]
	buffer_store_dword v111, off, s[60:63], 0 offset:32 ; 4-byte Folded Spill
	buffer_store_dword v112, off, s[60:63], 0 offset:36 ; 4-byte Folded Spill
	buffer_store_dword v113, off, s[60:63], 0 offset:40 ; 4-byte Folded Spill
	buffer_store_dword v114, off, s[60:63], 0 offset:44 ; 4-byte Folded Spill
	v_fma_f64 v[6:7], v[54:55], v[107:108], -v[6:7]
	buffer_store_dword v107, off, s[60:63], 0 offset:16 ; 4-byte Folded Spill
	buffer_store_dword v108, off, s[60:63], 0 offset:20 ; 4-byte Folded Spill
	buffer_store_dword v109, off, s[60:63], 0 offset:24 ; 4-byte Folded Spill
	buffer_store_dword v110, off, s[60:63], 0 offset:28 ; 4-byte Folded Spill
	;; [unrolled: 5-line block ×7, first 2 shown]
	s_waitcnt lgkmcnt(0)
	s_waitcnt_vscnt null, 0x0
	s_barrier
	buffer_gl0_inv
	v_add_f64 v[50:51], v[74:75], -v[2:3]
	v_sub_nc_u16 v2, v41, v44
	v_add_f64 v[54:55], v[78:79], -v[6:7]
	v_add_lshl_u32 v6, v28, v45, 4
	v_add_f64 v[46:47], v[91:92], -v[0:1]
	v_mad_u16 v0, v33, 34, v38
	v_add_f64 v[58:59], v[95:96], -v[12:13]
	v_mad_u16 v1, v35, 34, v39
	v_add_f64 v[62:63], v[99:100], -v[16:17]
	v_lshlrev_b32_sdwa v3, v40, v32 dst_sel:DWORD dst_unused:UNUSED_PAD src0_sel:DWORD src1_sel:WORD_0
	v_add_f64 v[66:67], v[103:104], -v[20:21]
	buffer_store_dword v6, off, s[60:63], 0 offset:332 ; 4-byte Folded Spill
	v_add_f64 v[70:71], v[82:83], -v[24:25]
	v_lshlrev_b32_sdwa v7, v40, v1 dst_sel:DWORD dst_unused:UNUSED_PAD src0_sel:DWORD src1_sel:WORD_0
	v_fma_f64 v[74:75], v[74:75], 2.0, -v[50:51]
	v_fma_f64 v[78:79], v[78:79], 2.0, -v[54:55]
	;; [unrolled: 1-line block ×3, first 2 shown]
	v_fma_f64 v[4:5], v[52:53], v[111:112], v[4:5]
	v_fma_f64 v[8:9], v[56:57], v[107:108], v[8:9]
	v_fma_f64 v[107:108], v[91:92], 2.0, -v[46:47]
	v_fma_f64 v[10:11], v[48:49], v[115:116], v[10:11]
	v_and_b32_e32 v91, 0xff, v2
	v_fma_f64 v[14:15], v[60:61], v[127:128], v[14:15]
	v_add_lshl_u32 v2, v42, v43, 4
	v_fma_f64 v[18:19], v[64:65], v[131:132], v[18:19]
	v_fma_f64 v[22:23], v[68:69], v[123:124], v[22:23]
	;; [unrolled: 1-line block ×3, first 2 shown]
	v_add_f64 v[52:53], v[76:77], -v[4:5]
	v_lshlrev_b32_sdwa v5, v40, v30 dst_sel:DWORD dst_unused:UNUSED_PAD src0_sel:DWORD src1_sel:WORD_0
	v_add_f64 v[56:57], v[80:81], -v[8:9]
	v_lshlrev_b32_sdwa v8, v40, v0 dst_sel:DWORD dst_unused:UNUSED_PAD src0_sel:DWORD src1_sel:WORD_0
	v_add_f64 v[48:49], v[93:94], -v[10:11]
	v_mad_u64_u32 v[0:1], null, 0x60, v89, s[0:1]
	v_add_f64 v[60:61], v[97:98], -v[14:15]
	v_add_f64 v[64:65], v[101:102], -v[18:19]
	v_lshlrev_b32_sdwa v4, v40, v31 dst_sel:DWORD dst_unused:UNUSED_PAD src0_sel:DWORD src1_sel:WORD_0
	v_add_f64 v[68:69], v[105:106], -v[22:23]
	v_add_f64 v[72:73], v[84:85], -v[26:27]
	v_fma_f64 v[76:77], v[76:77], 2.0, -v[52:53]
	ds_write_b128 v6, v[50:53] offset:272
	v_fma_f64 v[80:81], v[80:81], 2.0, -v[56:57]
	v_mov_b32_e32 v52, 0xee
	v_fma_f64 v[109:110], v[93:94], 2.0, -v[48:49]
	v_fma_f64 v[92:93], v[95:96], 2.0, -v[58:59]
	ds_write_b128 v6, v[74:77]
	ds_write_b128 v2, v[54:57] offset:272
	v_fma_f64 v[94:95], v[97:98], 2.0, -v[60:61]
	v_fma_f64 v[96:97], v[99:100], 2.0, -v[62:63]
	;; [unrolled: 1-line block ×6, first 2 shown]
	buffer_store_dword v2, off, s[60:63], 0 offset:344 ; 4-byte Folded Spill
	ds_write_b128 v2, v[78:81]
	ds_write_b128 v5, v[107:110]
	buffer_store_dword v5, off, s[60:63], 0 offset:328 ; 4-byte Folded Spill
	ds_write_b128 v5, v[46:49] offset:272
	ds_write_b128 v4, v[92:95]
	buffer_store_dword v4, off, s[60:63], 0 offset:324 ; 4-byte Folded Spill
	ds_write_b128 v4, v[58:61] offset:272
	;; [unrolled: 3-line block ×5, first 2 shown]
	s_waitcnt lgkmcnt(0)
	s_waitcnt_vscnt null, 0x0
	s_barrier
	buffer_gl0_inv
	s_clause 0x1
	global_load_dwordx4 v[73:76], v[0:1], off offset:272
	global_load_dwordx4 v[65:68], v[0:1], off offset:288
	v_mad_u64_u32 v[2:3], null, 0x60, v91, s[0:1]
	s_clause 0x9
	global_load_dwordx4 v[53:56], v[0:1], off offset:304
	global_load_dwordx4 v[77:80], v[0:1], off offset:352
	;; [unrolled: 1-line block ×10, first 2 shown]
	ds_read_b128 v[92:95], v225 offset:3808
	ds_read_b128 v[96:99], v225 offset:7616
	;; [unrolled: 1-line block ×12, first 2 shown]
	v_mad_u64_u32 v[0:1], null, 0x60, v242, s[0:1]
	v_add_co_u32 v2, s0, 0xdd0, v0
	v_add_co_ci_u32_e64 v3, s0, 0, v1, s0
	v_add_co_u32 v4, s0, 0x800, v0
	v_add_co_ci_u32_e64 v5, s0, 0, v1, s0
	s_waitcnt vmcnt(9) lgkmcnt(9)
	v_mul_f64 v[14:15], v[102:103], v[55:56]
	s_waitcnt vmcnt(8) lgkmcnt(8)
	v_mul_f64 v[18:19], v[106:107], v[79:80]
	;; [unrolled: 2-line block ×3, first 2 shown]
	v_mul_f64 v[6:7], v[94:95], v[75:76]
	v_mul_f64 v[10:11], v[98:99], v[67:68]
	;; [unrolled: 1-line block ×4, first 2 shown]
	s_waitcnt vmcnt(6) lgkmcnt(6)
	v_mul_f64 v[26:27], v[114:115], v[59:60]
	s_waitcnt vmcnt(5) lgkmcnt(5)
	v_mul_f64 v[30:31], v[118:119], v[144:145]
	;; [unrolled: 2-line block ×5, first 2 shown]
	v_mul_f64 v[20:21], v[104:105], v[79:80]
	v_mul_f64 v[24:25], v[108:109], v[71:72]
	;; [unrolled: 1-line block ×10, first 2 shown]
	v_fma_f64 v[14:15], v[100:101], v[53:54], -v[14:15]
	v_fma_f64 v[18:19], v[104:105], v[77:78], -v[18:19]
	;; [unrolled: 1-line block ×4, first 2 shown]
	buffer_store_dword v73, off, s[60:63], 0 offset:208 ; 4-byte Folded Spill
	buffer_store_dword v74, off, s[60:63], 0 offset:212 ; 4-byte Folded Spill
	;; [unrolled: 1-line block ×4, first 2 shown]
	v_fma_f64 v[10:11], v[96:97], v[65:66], -v[10:11]
	buffer_store_dword v65, off, s[60:63], 0 offset:176 ; 4-byte Folded Spill
	buffer_store_dword v66, off, s[60:63], 0 offset:180 ; 4-byte Folded Spill
	buffer_store_dword v67, off, s[60:63], 0 offset:184 ; 4-byte Folded Spill
	buffer_store_dword v68, off, s[60:63], 0 offset:188 ; 4-byte Folded Spill
	buffer_store_dword v77, off, s[60:63], 0 offset:224 ; 4-byte Folded Spill
	buffer_store_dword v78, off, s[60:63], 0 offset:228 ; 4-byte Folded Spill
	buffer_store_dword v79, off, s[60:63], 0 offset:232 ; 4-byte Folded Spill
	buffer_store_dword v80, off, s[60:63], 0 offset:236 ; 4-byte Folded Spill
	buffer_store_dword v69, off, s[60:63], 0 offset:192 ; 4-byte Folded Spill
	buffer_store_dword v70, off, s[60:63], 0 offset:196 ; 4-byte Folded Spill
	buffer_store_dword v71, off, s[60:63], 0 offset:200 ; 4-byte Folded Spill
	buffer_store_dword v72, off, s[60:63], 0 offset:204 ; 4-byte Folded Spill
	buffer_store_dword v53, off, s[60:63], 0 offset:128 ; 4-byte Folded Spill
	buffer_store_dword v54, off, s[60:63], 0 offset:132 ; 4-byte Folded Spill
	buffer_store_dword v55, off, s[60:63], 0 offset:136 ; 4-byte Folded Spill
	buffer_store_dword v56, off, s[60:63], 0 offset:140 ; 4-byte Folded Spill
	v_fma_f64 v[26:27], v[112:113], v[57:58], -v[26:27]
	buffer_store_dword v57, off, s[60:63], 0 offset:144 ; 4-byte Folded Spill
	buffer_store_dword v58, off, s[60:63], 0 offset:148 ; 4-byte Folded Spill
	;; [unrolled: 1-line block ×4, first 2 shown]
	v_fma_f64 v[30:31], v[116:117], v[142:143], -v[30:31]
	v_fma_f64 v[42:43], v[132:133], v[150:151], -v[42:43]
	;; [unrolled: 1-line block ×4, first 2 shown]
	v_mul_f64 v[40:41], v[124:125], v[63:64]
	v_mul_f64 v[48:49], v[128:129], v[148:149]
	v_fma_f64 v[38:39], v[124:125], v[61:62], -v[38:39]
	v_fma_f64 v[46:47], v[128:129], v[146:147], -v[46:47]
	v_fma_f64 v[8:9], v[94:95], v[73:74], v[8:9]
	v_fma_f64 v[12:13], v[98:99], v[65:66], v[12:13]
	ds_read_b128 v[92:95], v225
	ds_read_b128 v[96:99], v225 offset:1904
	buffer_store_dword v142, off, s[60:63], 0 offset:256 ; 4-byte Folded Spill
	buffer_store_dword v143, off, s[60:63], 0 offset:260 ; 4-byte Folded Spill
	;; [unrolled: 1-line block ×24, first 2 shown]
	v_fma_f64 v[20:21], v[106:107], v[77:78], v[20:21]
	v_fma_f64 v[24:25], v[110:111], v[69:70], v[24:25]
	;; [unrolled: 1-line block ×4, first 2 shown]
	v_add_f64 v[102:103], v[6:7], v[18:19]
	v_add_f64 v[106:107], v[10:11], v[22:23]
	v_add_f64 v[6:7], v[6:7], -v[18:19]
	v_add_f64 v[18:19], v[14:15], v[26:27]
	v_add_f64 v[10:11], v[10:11], -v[22:23]
	v_add_f64 v[14:15], v[26:27], -v[14:15]
	v_add_f64 v[22:23], v[30:31], v[42:43]
	v_add_f64 v[26:27], v[30:31], -v[42:43]
	v_add_f64 v[30:31], v[34:35], v[50:51]
	v_add_f64 v[42:43], v[38:39], v[46:47]
	v_add_f64 v[38:39], v[46:47], -v[38:39]
	v_add_f64 v[34:35], v[34:35], -v[50:51]
	s_waitcnt lgkmcnt(0)
	s_waitcnt_vscnt null, 0x0
	s_barrier
	buffer_gl0_inv
	v_add_f64 v[104:105], v[8:9], v[20:21]
	v_add_f64 v[108:109], v[12:13], v[24:25]
	v_add_f64 v[8:9], v[8:9], -v[20:21]
	v_add_f64 v[20:21], v[16:17], v[28:29]
	v_add_f64 v[12:13], v[12:13], -v[24:25]
	v_add_f64 v[16:17], v[28:29], -v[16:17]
	v_add_f64 v[46:47], v[106:107], v[102:103]
	v_add_f64 v[50:51], v[106:107], -v[102:103]
	v_add_f64 v[102:103], v[102:103], -v[18:19]
	v_add_f64 v[106:107], v[18:19], -v[106:107]
	v_add_f64 v[110:111], v[14:15], v[10:11]
	v_add_f64 v[114:115], v[14:15], -v[10:11]
	v_add_f64 v[10:11], v[10:11], -v[6:7]
	v_add_f64 v[14:15], v[6:7], -v[14:15]
	v_add_f64 v[112:113], v[16:17], v[12:13]
	v_add_f64 v[116:117], v[16:17], -v[12:13]
	v_add_f64 v[18:19], v[18:19], v[46:47]
	v_add_f64 v[12:13], v[12:13], -v[8:9]
	v_add_f64 v[16:17], v[8:9], -v[16:17]
	v_add_f64 v[6:7], v[110:111], v[6:7]
	v_mul_f64 v[46:47], v[102:103], s[16:17]
	v_mul_f64 v[102:103], v[106:107], s[2:3]
	v_mul_f64 v[110:111], v[114:115], s[24:25]
	v_mul_f64 v[114:115], v[10:11], s[8:9]
	v_add_f64 v[8:9], v[112:113], v[8:9]
	v_mul_f64 v[112:113], v[116:117], s[24:25]
	v_add_f64 v[92:93], v[92:93], v[18:19]
	v_mul_f64 v[116:117], v[12:13], s[8:9]
	v_fma_f64 v[106:107], v[106:107], s[2:3], v[46:47]
	v_fma_f64 v[102:103], v[50:51], s[22:23], -v[102:103]
	v_fma_f64 v[46:47], v[50:51], s[18:19], -v[46:47]
	v_fma_f64 v[50:51], v[14:15], s[26:27], v[110:111]
	v_fma_f64 v[10:11], v[10:11], s[8:9], -v[110:111]
	v_fma_f64 v[14:15], v[14:15], s[28:29], -v[114:115]
	;; [unrolled: 1-line block ×3, first 2 shown]
	v_fma_f64 v[18:19], v[18:19], s[10:11], v[92:93]
	v_fma_f64 v[50:51], v[6:7], s[20:21], v[50:51]
	;; [unrolled: 1-line block ×5, first 2 shown]
	v_add_f64 v[46:47], v[46:47], v[18:19]
	v_fma_f64 v[32:33], v[118:119], v[142:143], v[32:33]
	v_fma_f64 v[44:45], v[134:135], v[150:151], v[44:45]
	;; [unrolled: 1-line block ×6, first 2 shown]
	v_add_f64 v[118:119], v[30:31], v[22:23]
	v_add_f64 v[122:123], v[30:31], -v[22:23]
	v_add_f64 v[22:23], v[22:23], -v[42:43]
	;; [unrolled: 1-line block ×4, first 2 shown]
	v_add_f64 v[126:127], v[38:39], v[34:35]
	v_add_f64 v[34:35], v[34:35], -v[26:27]
	v_add_f64 v[38:39], v[26:27], -v[38:39]
	v_add_f64 v[24:25], v[32:33], v[44:45]
	v_add_f64 v[28:29], v[32:33], -v[44:45]
	v_add_f64 v[32:33], v[36:37], v[100:101]
	;; [unrolled: 2-line block ×4, first 2 shown]
	v_add_f64 v[100:101], v[108:109], -v[104:105]
	v_add_f64 v[104:105], v[104:105], -v[20:21]
	;; [unrolled: 1-line block ×3, first 2 shown]
	v_add_f64 v[42:43], v[42:43], v[118:119]
	v_mul_f64 v[22:23], v[22:23], s[16:17]
	v_mul_f64 v[118:119], v[130:131], s[24:25]
	;; [unrolled: 1-line block ×3, first 2 shown]
	v_add_f64 v[26:27], v[126:127], v[26:27]
	v_mul_f64 v[126:127], v[30:31], s[2:3]
	v_add_f64 v[120:121], v[32:33], v[24:25]
	v_add_f64 v[124:125], v[32:33], -v[24:25]
	v_add_f64 v[24:25], v[24:25], -v[44:45]
	;; [unrolled: 1-line block ×3, first 2 shown]
	v_add_f64 v[20:21], v[20:21], v[48:49]
	v_add_f64 v[132:133], v[40:41], -v[36:37]
	v_add_f64 v[128:129], v[40:41], v[36:37]
	v_add_f64 v[36:37], v[36:37], -v[28:29]
	v_mul_f64 v[48:49], v[104:105], s[16:17]
	v_mul_f64 v[104:105], v[108:109], s[2:3]
	v_add_f64 v[40:41], v[28:29], -v[40:41]
	v_add_f64 v[96:97], v[96:97], v[42:43]
	v_fma_f64 v[110:111], v[38:39], s[26:27], v[118:119]
	v_fma_f64 v[30:31], v[30:31], s[2:3], v[22:23]
	v_fma_f64 v[34:35], v[34:35], s[8:9], -v[118:119]
	v_fma_f64 v[38:39], v[38:39], s[28:29], -v[130:131]
	;; [unrolled: 1-line block ×4, first 2 shown]
	v_add_f64 v[122:123], v[106:107], v[18:19]
	v_add_f64 v[18:19], v[102:103], v[18:19]
	;; [unrolled: 1-line block ×3, first 2 shown]
	v_mul_f64 v[24:25], v[24:25], s[16:17]
	v_add_f64 v[94:95], v[94:95], v[20:21]
	v_mul_f64 v[120:121], v[132:133], s[24:25]
	v_add_f64 v[28:29], v[128:129], v[28:29]
	v_mul_f64 v[132:133], v[36:37], s[8:9]
	v_mul_f64 v[128:129], v[32:33], s[2:3]
	v_fma_f64 v[108:109], v[108:109], s[2:3], v[48:49]
	v_fma_f64 v[104:105], v[100:101], s[22:23], -v[104:105]
	v_fma_f64 v[48:49], v[100:101], s[18:19], -v[48:49]
	v_fma_f64 v[100:101], v[16:17], s[26:27], v[112:113]
	v_fma_f64 v[16:17], v[16:17], s[28:29], -v[116:117]
	v_fma_f64 v[42:43], v[42:43], s[10:11], v[96:97]
	v_fma_f64 v[14:15], v[26:27], s[20:21], v[110:111]
	;; [unrolled: 1-line block ×4, first 2 shown]
	v_add_f64 v[98:99], v[98:99], v[44:45]
	v_fma_f64 v[32:33], v[32:33], s[2:3], v[24:25]
	v_fma_f64 v[24:25], v[124:125], s[18:19], -v[24:25]
	v_fma_f64 v[20:21], v[20:21], s[10:11], v[94:95]
	v_fma_f64 v[112:113], v[40:41], s[26:27], v[120:121]
	v_fma_f64 v[36:37], v[36:37], s[8:9], -v[120:121]
	v_fma_f64 v[40:41], v[40:41], s[28:29], -v[132:133]
	v_fma_f64 v[116:117], v[124:125], s[22:23], -v[128:129]
	v_fma_f64 v[120:121], v[8:9], s[20:21], v[100:101]
	v_fma_f64 v[8:9], v[8:9], s[20:21], v[16:17]
	v_add_f64 v[30:31], v[30:31], v[42:43]
	v_add_f64 v[22:23], v[22:23], v[42:43]
	;; [unrolled: 1-line block ×3, first 2 shown]
	v_add_co_u32 v42, s0, 0xe10, v0
	v_add_co_ci_u32_e64 v43, s0, 0, v1, s0
	v_fma_f64 v[44:45], v[44:45], s[10:11], v[98:99]
	v_add_f64 v[124:125], v[108:109], v[20:21]
	v_add_f64 v[48:49], v[48:49], v[20:21]
	v_add_f64 v[20:21], v[104:105], v[20:21]
	v_fma_f64 v[16:17], v[28:29], s[20:21], v[112:113]
	v_fma_f64 v[36:37], v[28:29], s[20:21], v[36:37]
	;; [unrolled: 1-line block ×3, first 2 shown]
	v_add_f64 v[108:109], v[18:19], -v[12:13]
	v_add_f64 v[112:113], v[12:13], v[18:19]
	v_add_f64 v[100:101], v[120:121], v[122:123]
	;; [unrolled: 1-line block ×3, first 2 shown]
	v_add_f64 v[120:121], v[122:123], -v[120:121]
	v_add_f64 v[32:33], v[32:33], v[44:45]
	v_add_f64 v[24:25], v[24:25], v[44:45]
	;; [unrolled: 1-line block ×3, first 2 shown]
	v_add_f64 v[116:117], v[46:47], -v[8:9]
	v_add_f64 v[102:103], v[124:125], -v[50:51]
	;; [unrolled: 1-line block ×3, first 2 shown]
	v_add_f64 v[110:111], v[10:11], v[20:21]
	v_add_f64 v[114:115], v[20:21], -v[10:11]
	v_add_f64 v[118:119], v[6:7], v[48:49]
	v_add_f64 v[122:123], v[50:51], v[124:125]
	;; [unrolled: 1-line block ×4, first 2 shown]
	v_add_f64 v[132:133], v[38:39], -v[36:37]
	v_add_f64 v[136:137], v[36:37], v[38:39]
	v_mul_u32_u24_sdwa v44, v88, v52 dst_sel:DWORD dst_unused:UNUSED_PAD src0_sel:WORD_0 src1_sel:DWORD
	v_add_f64 v[140:141], v[22:23], -v[28:29]
	v_add_f64 v[144:145], v[30:31], -v[16:17]
	v_add_co_u32 v6, s0, 0x3800, v0
	v_mul_u32_u24_sdwa v45, v90, v52 dst_sel:DWORD dst_unused:UNUSED_PAD src0_sel:WORD_0 src1_sel:DWORD
	v_add_lshl_u32 v235, v44, v89, 4
	v_add_co_ci_u32_e64 v7, s0, 0, v1, s0
	v_add_f64 v[126:127], v[32:33], -v[14:15]
	v_add_f64 v[130:131], v[24:25], -v[26:27]
	v_add_f64 v[134:135], v[34:35], v[40:41]
	v_add_f64 v[138:139], v[40:41], -v[34:35]
	v_add_f64 v[142:143], v[26:27], v[24:25]
	v_add_f64 v[146:147], v[14:15], v[32:33]
	v_add_lshl_u32 v224, v45, v91, 4
	ds_write_b128 v235, v[92:95]
	ds_write_b128 v235, v[100:103] offset:544
	ds_write_b128 v235, v[104:107] offset:1088
	;; [unrolled: 1-line block ×6, first 2 shown]
	ds_write_b128 v224, v[96:99]
	ds_write_b128 v224, v[124:127] offset:544
	ds_write_b128 v224, v[128:131] offset:1088
	;; [unrolled: 1-line block ×6, first 2 shown]
	s_waitcnt lgkmcnt(0)
	s_barrier
	buffer_gl0_inv
	s_clause 0x6
	global_load_dwordx4 v[104:107], v[4:5], off offset:1488
	global_load_dwordx4 v[92:95], v[2:3], off offset:32
	;; [unrolled: 1-line block ×7, first 2 shown]
	v_add_co_u32 v4, s0, 0x3a70, v0
	v_add_co_ci_u32_e64 v5, s0, 0, v1, s0
	v_add_co_u32 v0, s0, 0x3ab0, v0
	v_add_co_ci_u32_e64 v1, s0, 0, v1, s0
	s_clause 0x4
	global_load_dwordx4 v[124:127], v[4:5], off offset:16
	global_load_dwordx4 v[116:119], v[4:5], off offset:32
	;; [unrolled: 1-line block ×5, first 2 shown]
	ds_read_b128 v[136:139], v225 offset:3808
	ds_read_b128 v[140:143], v225 offset:7616
	;; [unrolled: 1-line block ×12, first 2 shown]
	s_waitcnt vmcnt(11) lgkmcnt(11)
	v_mul_f64 v[0:1], v[138:139], v[106:107]
	v_mul_f64 v[2:3], v[136:137], v[106:107]
	s_waitcnt vmcnt(9) lgkmcnt(10)
	v_mul_f64 v[4:5], v[142:143], v[110:111]
	v_mul_f64 v[6:7], v[140:141], v[110:111]
	s_waitcnt lgkmcnt(9)
	v_mul_f64 v[8:9], v[146:147], v[94:95]
	s_waitcnt vmcnt(5) lgkmcnt(5)
	v_mul_f64 v[24:25], v[162:163], v[50:51]
	v_mul_f64 v[26:27], v[160:161], v[50:51]
	;; [unrolled: 1-line block ×9, first 2 shown]
	s_waitcnt vmcnt(4) lgkmcnt(4)
	v_mul_f64 v[28:29], v[166:167], v[126:127]
	v_mul_f64 v[30:31], v[164:165], v[126:127]
	s_waitcnt vmcnt(2) lgkmcnt(1)
	v_mul_f64 v[36:37], v[178:179], v[134:135]
	v_mul_f64 v[38:39], v[176:177], v[134:135]
	;; [unrolled: 3-line block ×3, first 2 shown]
	v_mul_f64 v[32:33], v[170:171], v[118:119]
	v_mul_f64 v[34:35], v[168:169], v[118:119]
	v_fma_f64 v[0:1], v[136:137], v[104:105], -v[0:1]
	v_fma_f64 v[2:3], v[138:139], v[104:105], v[2:3]
	v_fma_f64 v[4:5], v[140:141], v[108:109], -v[4:5]
	v_fma_f64 v[6:7], v[142:143], v[108:109], v[6:7]
	ds_read_b128 v[136:139], v225
	ds_read_b128 v[140:143], v225 offset:1904
	v_fma_f64 v[24:25], v[160:161], v[48:49], -v[24:25]
	buffer_store_dword v48, off, s[60:63], 0 offset:348 ; 4-byte Folded Spill
	buffer_store_dword v49, off, s[60:63], 0 offset:352 ; 4-byte Folded Spill
	;; [unrolled: 1-line block ×4, first 2 shown]
	v_mul_f64 v[40:41], v[174:175], v[122:123]
	v_mul_f64 v[42:43], v[172:173], v[122:123]
	v_fma_f64 v[12:13], v[148:149], v[112:113], -v[12:13]
	v_fma_f64 v[14:15], v[150:151], v[112:113], v[14:15]
	v_fma_f64 v[16:17], v[152:153], v[100:101], -v[16:17]
	v_fma_f64 v[18:19], v[154:155], v[100:101], v[18:19]
	v_fma_f64 v[8:9], v[144:145], v[92:93], -v[8:9]
	v_fma_f64 v[10:11], v[146:147], v[92:93], v[10:11]
	v_fma_f64 v[20:21], v[156:157], v[96:97], -v[20:21]
	v_fma_f64 v[22:23], v[158:159], v[96:97], v[22:23]
	v_fma_f64 v[36:37], v[176:177], v[132:133], -v[36:37]
	v_fma_f64 v[38:39], v[178:179], v[132:133], v[38:39]
	v_fma_f64 v[28:29], v[164:165], v[124:125], -v[28:29]
	v_fma_f64 v[30:31], v[166:167], v[124:125], v[30:31]
	v_fma_f64 v[44:45], v[180:181], v[128:129], -v[44:45]
	v_fma_f64 v[46:47], v[182:183], v[128:129], v[46:47]
	v_fma_f64 v[32:33], v[168:169], v[116:117], -v[32:33]
	v_fma_f64 v[34:35], v[170:171], v[116:117], v[34:35]
	v_fma_f64 v[40:41], v[172:173], v[120:121], -v[40:41]
	v_fma_f64 v[42:43], v[174:175], v[120:121], v[42:43]
	v_add_f64 v[50:51], v[2:3], v[14:15]
	v_add_f64 v[144:145], v[4:5], v[16:17]
	;; [unrolled: 1-line block ×3, first 2 shown]
	v_add_f64 v[2:3], v[2:3], -v[14:15]
	v_add_f64 v[4:5], v[4:5], -v[16:17]
	;; [unrolled: 1-line block ×3, first 2 shown]
	v_add_f64 v[14:15], v[10:11], v[22:23]
	v_add_f64 v[10:11], v[22:23], -v[10:11]
	v_add_f64 v[16:17], v[24:25], v[36:37]
	v_add_f64 v[150:151], v[10:11], v[6:7]
	v_add_f64 v[154:155], v[10:11], -v[6:7]
	v_add_f64 v[6:7], v[6:7], -v[2:3]
	;; [unrolled: 1-line block ×3, first 2 shown]
	v_add_f64 v[2:3], v[150:151], v[2:3]
	v_mul_f64 v[150:151], v[154:155], s[24:25]
	v_mul_f64 v[154:155], v[6:7], s[8:9]
	v_fma_f64 v[6:7], v[6:7], s[8:9], -v[150:151]
	v_fma_f64 v[6:7], v[2:3], s[20:21], v[6:7]
	v_fma_f64 v[26:27], v[162:163], v[48:49], v[26:27]
	v_add_f64 v[48:49], v[0:1], v[12:13]
	v_add_f64 v[0:1], v[0:1], -v[12:13]
	v_add_f64 v[12:13], v[8:9], v[20:21]
	v_add_f64 v[8:9], v[20:21], -v[8:9]
	v_add_f64 v[20:21], v[24:25], -v[36:37]
	v_add_f64 v[24:25], v[28:29], v[44:45]
	v_add_f64 v[28:29], v[28:29], -v[44:45]
	v_add_f64 v[36:37], v[32:33], v[40:41]
	v_add_f64 v[32:33], v[40:41], -v[32:33]
	v_add_f64 v[18:19], v[26:27], v[38:39]
	v_add_f64 v[22:23], v[26:27], -v[38:39]
	v_add_f64 v[26:27], v[30:31], v[46:47]
	v_add_f64 v[30:31], v[30:31], -v[46:47]
	v_add_f64 v[38:39], v[34:35], v[42:43]
	v_add_f64 v[34:35], v[42:43], -v[34:35]
	v_add_f64 v[40:41], v[144:145], v[48:49]
	v_add_f64 v[42:43], v[146:147], v[50:51]
	v_add_f64 v[156:157], v[24:25], v[16:17]
	v_add_f64 v[44:45], v[144:145], -v[48:49]
	v_add_f64 v[46:47], v[146:147], -v[50:51]
	;; [unrolled: 1-line block ×6, first 2 shown]
	v_add_f64 v[148:149], v[8:9], v[4:5]
	v_add_f64 v[152:153], v[8:9], -v[4:5]
	v_add_f64 v[4:5], v[4:5], -v[0:1]
	;; [unrolled: 1-line block ×5, first 2 shown]
	v_add_f64 v[164:165], v[32:33], v[28:29]
	v_add_f64 v[168:169], v[32:33], -v[28:29]
	v_add_f64 v[28:29], v[28:29], -v[20:21]
	v_add_f64 v[158:159], v[26:27], v[18:19]
	v_add_f64 v[162:163], v[26:27], -v[18:19]
	v_add_f64 v[18:19], v[18:19], -v[38:39]
	;; [unrolled: 1-line block ×3, first 2 shown]
	v_add_f64 v[166:167], v[34:35], v[30:31]
	v_add_f64 v[170:171], v[34:35], -v[30:31]
	v_add_f64 v[12:13], v[12:13], v[40:41]
	v_add_f64 v[14:15], v[14:15], v[42:43]
	v_add_f64 v[30:31], v[30:31], -v[22:23]
	v_add_f64 v[36:37], v[36:37], v[156:157]
	v_add_f64 v[8:9], v[0:1], -v[8:9]
	v_add_f64 v[32:33], v[20:21], -v[32:33]
	;; [unrolled: 1-line block ×3, first 2 shown]
	v_add_f64 v[0:1], v[148:149], v[0:1]
	v_mul_f64 v[40:41], v[48:49], s[16:17]
	v_mul_f64 v[42:43], v[50:51], s[16:17]
	;; [unrolled: 1-line block ×6, first 2 shown]
	v_add_f64 v[20:21], v[164:165], v[20:21]
	v_mul_f64 v[16:17], v[16:17], s[16:17]
	v_add_f64 v[38:39], v[38:39], v[158:159]
	v_mul_f64 v[164:165], v[24:25], s[2:3]
	v_mul_f64 v[18:19], v[18:19], s[16:17]
	;; [unrolled: 1-line block ×3, first 2 shown]
	v_add_f64 v[22:23], v[166:167], v[22:23]
	v_mul_f64 v[166:167], v[26:27], s[2:3]
	s_waitcnt lgkmcnt(1)
	v_add_f64 v[136:137], v[136:137], v[12:13]
	v_add_f64 v[138:139], v[138:139], v[14:15]
	v_mul_f64 v[170:171], v[170:171], s[24:25]
	v_mul_f64 v[172:173], v[28:29], s[8:9]
	;; [unrolled: 1-line block ×3, first 2 shown]
	s_waitcnt lgkmcnt(0)
	v_add_f64 v[156:157], v[140:141], v[36:37]
	v_fma_f64 v[144:145], v[144:145], s[2:3], v[40:41]
	v_fma_f64 v[146:147], v[146:147], s[2:3], v[42:43]
	v_fma_f64 v[48:49], v[44:45], s[22:23], -v[48:49]
	v_fma_f64 v[50:51], v[46:47], s[22:23], -v[50:51]
	v_fma_f64 v[40:41], v[44:45], s[18:19], -v[40:41]
	v_fma_f64 v[42:43], v[46:47], s[18:19], -v[42:43]
	v_fma_f64 v[44:45], v[8:9], s[26:27], v[148:149]
	v_fma_f64 v[46:47], v[10:11], s[26:27], v[150:151]
	v_add_f64 v[158:159], v[142:143], v[38:39]
	v_fma_f64 v[4:5], v[4:5], s[8:9], -v[148:149]
	v_fma_f64 v[8:9], v[8:9], s[28:29], -v[152:153]
	v_fma_f64 v[10:11], v[10:11], s[28:29], -v[154:155]
	v_fma_f64 v[24:25], v[24:25], s[2:3], v[16:17]
	v_fma_f64 v[26:27], v[26:27], s[2:3], v[18:19]
	;; [unrolled: 1-line block ×4, first 2 shown]
	v_fma_f64 v[140:141], v[160:161], s[22:23], -v[164:165]
	v_fma_f64 v[142:143], v[162:163], s[22:23], -v[166:167]
	v_fma_f64 v[148:149], v[32:33], s[26:27], v[168:169]
	v_fma_f64 v[150:151], v[34:35], s[26:27], v[170:171]
	v_fma_f64 v[28:29], v[28:29], s[8:9], -v[168:169]
	v_fma_f64 v[30:31], v[30:31], s[8:9], -v[170:171]
	;; [unrolled: 1-line block ×4, first 2 shown]
	v_fma_f64 v[36:37], v[36:37], s[10:11], v[156:157]
	v_fma_f64 v[16:17], v[160:161], s[18:19], -v[16:17]
	v_fma_f64 v[18:19], v[162:163], s[18:19], -v[18:19]
	v_fma_f64 v[44:45], v[0:1], s[20:21], v[44:45]
	v_fma_f64 v[46:47], v[2:3], s[20:21], v[46:47]
	;; [unrolled: 1-line block ×6, first 2 shown]
	v_add_f64 v[8:9], v[144:145], v[12:13]
	v_add_f64 v[10:11], v[146:147], v[14:15]
	;; [unrolled: 1-line block ×6, first 2 shown]
	v_fma_f64 v[48:49], v[20:21], s[20:21], v[148:149]
	v_fma_f64 v[50:51], v[22:23], s[20:21], v[150:151]
	;; [unrolled: 1-line block ×6, first 2 shown]
	v_add_f64 v[24:25], v[24:25], v[36:37]
	v_add_f64 v[16:17], v[16:17], v[36:37]
	;; [unrolled: 1-line block ×7, first 2 shown]
	v_add_f64 v[142:143], v[10:11], -v[44:45]
	v_add_f64 v[144:145], v[2:3], v[40:41]
	v_add_f64 v[146:147], v[42:43], -v[0:1]
	v_add_f64 v[148:149], v[12:13], -v[6:7]
	v_add_f64 v[150:151], v[4:5], v[14:15]
	v_add_f64 v[152:153], v[6:7], v[12:13]
	v_add_f64 v[154:155], v[14:15], -v[4:5]
	v_add_f64 v[160:161], v[40:41], -v[2:3]
	v_add_f64 v[162:163], v[0:1], v[42:43]
	v_add_f64 v[168:169], v[8:9], -v[46:47]
	v_add_f64 v[170:171], v[44:45], v[10:11]
	v_add_f64 v[172:173], v[50:51], v[24:25]
	;; [unrolled: 1-line block ×3, first 2 shown]
	v_add_f64 v[180:181], v[32:33], -v[30:31]
	v_add_f64 v[188:189], v[30:31], v[32:33]
	v_add_f64 v[174:175], v[26:27], -v[48:49]
	v_add_f64 v[178:179], v[18:19], -v[20:21]
	v_add_f64 v[182:183], v[28:29], v[34:35]
	v_add_f64 v[190:191], v[34:35], -v[28:29]
	;; [unrolled: 3-line block ×3, first 2 shown]
	v_add_f64 v[166:167], v[48:49], v[26:27]
	ds_write_b128 v225, v[136:139]
	ds_write_b128 v225, v[156:159] offset:1904
	ds_write_b128 v225, v[140:143] offset:3808
	;; [unrolled: 1-line block ×13, first 2 shown]
	s_waitcnt lgkmcnt(0)
	s_waitcnt_vscnt null, 0x0
	s_barrier
	buffer_gl0_inv
	s_and_saveexec_b32 s1, vcc_lo
	s_cbranch_execz .LBB0_9
; %bb.8:
	v_add_co_u32 v236, s0, s12, v255
	v_add_co_ci_u32_e64 v237, null, s13, 0, s0
	v_mov_b32_e32 v65, v244
	v_add_co_u32 v0, s0, 0x6800, v236
	v_add_co_ci_u32_e64 v1, s0, 0, v237, s0
	v_mov_b32_e32 v64, v243
	v_mov_b32_e32 v66, v245
	;; [unrolled: 1-line block ×3, first 2 shown]
	global_load_dwordx4 v[192:195], v[0:1], off offset:32
	v_add_co_u32 v0, s0, 0x6820, v236
	v_add_co_ci_u32_e64 v1, s0, 0, v237, s0
	v_add_co_u32 v2, s0, 0x7000, v236
	v_add_co_ci_u32_e64 v3, s0, 0, v237, s0
	global_load_dwordx4 v[196:199], v[0:1], off offset:1568
	v_add_co_u32 v0, s0, 0x7800, v236
	global_load_dwordx4 v[200:203], v[2:3], off offset:1120
	v_add_co_ci_u32_e64 v1, s0, 0, v237, s0
	v_mov_b32_e32 v68, v247
	v_mov_b32_e32 v69, v248
	v_mov_b32_e32 v70, v249
	global_load_dwordx4 v[204:207], v[0:1], off offset:640
	v_add_co_u32 v2, s0, 0x8000, v236
	v_add_co_ci_u32_e64 v3, s0, 0, v237, s0
	v_add_co_u32 v0, s0, 0x8800, v236
	v_add_co_ci_u32_e64 v1, s0, 0, v237, s0
	s_clause 0x2
	global_load_dwordx4 v[216:219], v[2:3], off offset:160
	global_load_dwordx4 v[212:215], v[2:3], off offset:1728
	;; [unrolled: 1-line block ×3, first 2 shown]
	v_add_co_u32 v0, s0, 0x9000, v236
	v_add_co_ci_u32_e64 v1, s0, 0, v237, s0
	v_mov_b32_e32 v71, v250
	v_mov_b32_e32 v72, v251
	global_load_dwordx4 v[220:223], v[0:1], off offset:768
	v_add_co_u32 v0, s0, 0x9800, v236
	v_add_co_ci_u32_e64 v1, s0, 0, v237, s0
	v_add_co_u32 v2, s0, 0xa000, v236
	v_add_co_ci_u32_e64 v3, s0, 0, v237, s0
	s_clause 0x1
	global_load_dwordx4 v[243:246], v[0:1], off offset:288
	global_load_dwordx4 v[247:250], v[0:1], off offset:1856
	v_add_co_u32 v0, s0, 0xa800, v236
	global_load_dwordx4 v[251:254], v[2:3], off offset:1376
	v_add_co_ci_u32_e64 v1, s0, 0, v237, s0
	v_add_co_u32 v2, s0, 0xb000, v236
	v_add_co_ci_u32_e64 v3, s0, 0, v237, s0
	v_add_co_u32 v4, s0, 0xb800, v236
	;; [unrolled: 2-line block ×4, first 2 shown]
	s_clause 0x1
	global_load_dwordx4 v[227:230], v[0:1], off offset:896
	global_load_dwordx4 v[238:241], v[2:3], off offset:416
	v_add_co_ci_u32_e64 v13, s0, 0, v237, s0
	s_clause 0x3
	global_load_dwordx4 v[0:3], v[2:3], off offset:1984
	global_load_dwordx4 v[4:7], v[4:5], off offset:1504
	;; [unrolled: 1-line block ×4, first 2 shown]
	ds_read_b128 v[12:15], v225
	s_waitcnt vmcnt(16) lgkmcnt(0)
	v_mul_f64 v[16:17], v[14:15], v[194:195]
	v_mul_f64 v[18:19], v[12:13], v[194:195]
	v_fma_f64 v[12:13], v[12:13], v[192:193], -v[16:17]
	v_fma_f64 v[14:15], v[14:15], v[192:193], v[18:19]
	ds_write_b128 v225, v[12:15]
	ds_read_b128 v[12:15], v226 offset:1568
	ds_read_b128 v[192:195], v226 offset:3136
	;; [unrolled: 1-line block ×8, first 2 shown]
	s_waitcnt vmcnt(15) lgkmcnt(7)
	v_mul_f64 v[40:41], v[14:15], v[198:199]
	v_mul_f64 v[42:43], v[12:13], v[198:199]
	s_waitcnt vmcnt(14) lgkmcnt(6)
	v_mul_f64 v[44:45], v[194:195], v[202:203]
	v_mul_f64 v[46:47], v[192:193], v[202:203]
	;; [unrolled: 3-line block ×3, first 2 shown]
	v_mul_f64 v[48:49], v[18:19], v[206:207]
	v_mul_f64 v[50:51], v[16:17], v[206:207]
	s_waitcnt vmcnt(11) lgkmcnt(3)
	v_mul_f64 v[52:53], v[26:27], v[214:215]
	v_mul_f64 v[54:55], v[24:25], v[214:215]
	s_waitcnt vmcnt(10) lgkmcnt(2)
	;; [unrolled: 3-line block ×4, first 2 shown]
	v_mul_f64 v[222:223], v[38:39], v[245:246]
	v_fma_f64 v[12:13], v[12:13], v[196:197], -v[40:41]
	v_fma_f64 v[14:15], v[14:15], v[196:197], v[42:43]
	ds_read_b128 v[196:199], v226 offset:14112
	v_fma_f64 v[192:193], v[192:193], v[200:201], -v[44:45]
	v_fma_f64 v[194:195], v[194:195], v[200:201], v[46:47]
	ds_read_b128 v[200:203], v226 offset:15680
	v_fma_f64 v[22:23], v[22:23], v[216:217], v[218:219]
	v_mul_f64 v[218:219], v[36:37], v[245:246]
	v_fma_f64 v[16:17], v[16:17], v[204:205], -v[48:49]
	v_fma_f64 v[18:19], v[18:19], v[204:205], v[50:51]
	ds_read_b128 v[204:207], v226 offset:17248
	ds_read_b128 v[40:43], v226 offset:18816
	v_fma_f64 v[24:25], v[24:25], v[212:213], -v[52:53]
	v_fma_f64 v[20:21], v[20:21], v[216:217], -v[236:237]
	v_fma_f64 v[26:27], v[26:27], v[212:213], v[54:55]
	ds_read_b128 v[210:213], v226 offset:20384
	ds_read_b128 v[214:217], v226 offset:21952
	v_fma_f64 v[28:29], v[28:29], v[208:209], -v[56:57]
	ds_read_b128 v[44:47], v226 offset:23520
	ds_read_b128 v[48:51], v226 offset:25088
	v_fma_f64 v[30:31], v[30:31], v[208:209], v[58:59]
	v_fma_f64 v[32:33], v[32:33], v[220:221], -v[60:61]
	v_fma_f64 v[34:35], v[34:35], v[220:221], v[62:63]
	v_fma_f64 v[36:37], v[36:37], v[243:244], -v[222:223]
	s_waitcnt vmcnt(7) lgkmcnt(7)
	v_mul_f64 v[52:53], v[198:199], v[249:250]
	v_mul_f64 v[54:55], v[196:197], v[249:250]
	s_waitcnt vmcnt(6) lgkmcnt(6)
	v_mul_f64 v[56:57], v[202:203], v[253:254]
	v_mul_f64 v[58:59], v[200:201], v[253:254]
	;; [unrolled: 3-line block ×3, first 2 shown]
	s_waitcnt vmcnt(4) lgkmcnt(4)
	v_mul_f64 v[208:209], v[42:43], v[240:241]
	v_fma_f64 v[38:39], v[38:39], v[243:244], v[218:219]
	v_mul_f64 v[218:219], v[40:41], v[240:241]
	s_waitcnt vmcnt(3) lgkmcnt(3)
	v_mul_f64 v[220:221], v[212:213], v[2:3]
	v_mul_f64 v[2:3], v[210:211], v[2:3]
	s_waitcnt vmcnt(2) lgkmcnt(2)
	v_mul_f64 v[222:223], v[216:217], v[6:7]
	v_mul_f64 v[6:7], v[214:215], v[6:7]
	v_mov_b32_e32 v243, v64
	v_fma_f64 v[196:197], v[196:197], v[247:248], -v[52:53]
	s_waitcnt vmcnt(1) lgkmcnt(1)
	v_mul_f64 v[52:53], v[46:47], v[10:11]
	v_mul_f64 v[10:11], v[44:45], v[10:11]
	v_fma_f64 v[198:199], v[198:199], v[247:248], v[54:55]
	s_waitcnt vmcnt(0) lgkmcnt(0)
	v_mul_f64 v[54:55], v[50:51], v[233:234]
	v_fma_f64 v[200:201], v[200:201], v[251:252], -v[56:57]
	v_mul_f64 v[56:57], v[48:49], v[233:234]
	v_fma_f64 v[202:203], v[202:203], v[251:252], v[58:59]
	v_fma_f64 v[204:205], v[204:205], v[227:228], -v[60:61]
	v_fma_f64 v[206:207], v[206:207], v[227:228], v[62:63]
	v_fma_f64 v[40:41], v[40:41], v[238:239], -v[208:209]
	;; [unrolled: 2-line block ×4, first 2 shown]
	v_fma_f64 v[2:3], v[216:217], v[4:5], v[6:7]
	v_mov_b32_e32 v247, v68
	v_mov_b32_e32 v251, v72
	;; [unrolled: 1-line block ×7, first 2 shown]
	v_fma_f64 v[4:5], v[44:45], v[8:9], -v[52:53]
	v_fma_f64 v[6:7], v[46:47], v[8:9], v[10:11]
	v_mov_b32_e32 v248, v69
	v_fma_f64 v[8:9], v[48:49], v[231:232], -v[54:55]
	v_fma_f64 v[10:11], v[50:51], v[231:232], v[56:57]
	ds_write_b128 v226, v[12:15] offset:1568
	ds_write_b128 v226, v[192:195] offset:3136
	ds_write_b128 v226, v[16:19] offset:4704
	ds_write_b128 v226, v[20:23] offset:6272
	ds_write_b128 v226, v[24:27] offset:7840
	ds_write_b128 v226, v[28:31] offset:9408
	ds_write_b128 v226, v[32:35] offset:10976
	ds_write_b128 v226, v[36:39] offset:12544
	ds_write_b128 v226, v[196:199] offset:14112
	ds_write_b128 v226, v[200:203] offset:15680
	ds_write_b128 v226, v[204:207] offset:17248
	ds_write_b128 v226, v[40:43] offset:18816
	ds_write_b128 v226, v[208:211] offset:20384
	ds_write_b128 v226, v[0:3] offset:21952
	ds_write_b128 v226, v[4:7] offset:23520
	ds_write_b128 v226, v[8:11] offset:25088
.LBB0_9:
	s_or_b32 exec_lo, exec_lo, s1
	s_waitcnt lgkmcnt(0)
	s_barrier
	buffer_gl0_inv
	s_and_saveexec_b32 s0, vcc_lo
	s_cbranch_execz .LBB0_11
; %bb.10:
	ds_read_b128 v[136:139], v225
	ds_read_b128 v[140:143], v225 offset:1568
	ds_read_b128 v[144:147], v225 offset:3136
	;; [unrolled: 1-line block ×14, first 2 shown]
	s_waitcnt lgkmcnt(0)
	buffer_store_dword v0, off, s[60:63], 0 ; 4-byte Folded Spill
	buffer_store_dword v1, off, s[60:63], 0 offset:4 ; 4-byte Folded Spill
	buffer_store_dword v2, off, s[60:63], 0 offset:8 ; 4-byte Folded Spill
	;; [unrolled: 1-line block ×3, first 2 shown]
	ds_read_b128 v[248:251], v225 offset:23520
	ds_read_b128 v[244:247], v225 offset:25088
.LBB0_11:
	s_or_b32 exec_lo, exec_lo, s0
	s_waitcnt lgkmcnt(0)
	s_waitcnt_vscnt null, 0x0
	s_barrier
	buffer_gl0_inv
	s_and_saveexec_b32 s33, vcc_lo
	s_cbranch_execz .LBB0_13
; %bb.12:
	s_clause 0x3
	buffer_load_dword v8, off, s[60:63], 0
	buffer_load_dword v9, off, s[60:63], 0 offset:4
	buffer_load_dword v10, off, s[60:63], 0 offset:8
	;; [unrolled: 1-line block ×3, first 2 shown]
	v_add_f64 v[0:1], v[138:139], v[142:143]
	v_add_f64 v[2:3], v[136:137], v[140:141]
	v_add_f64 v[222:223], v[140:141], -v[244:245]
	v_add_f64 v[220:221], v[142:143], -v[246:247]
	s_mov_b32 s18, 0xacd6c6b4
	s_mov_b32 s19, 0xbfc7851a
	v_add_f64 v[214:215], v[144:145], -v[248:249]
	v_add_f64 v[210:211], v[146:147], -v[250:251]
	v_add_f64 v[218:219], v[142:143], v[246:247]
	v_add_f64 v[216:217], v[140:141], v[244:245]
	s_mov_b32 s16, 0x5d8e7cdc
	s_mov_b32 s0, 0x7faef3
	;; [unrolled: 1-line block ×8, first 2 shown]
	v_add_f64 v[194:195], v[172:173], -v[176:177]
	v_add_f64 v[198:199], v[156:157], -v[180:181]
	;; [unrolled: 1-line block ×4, first 2 shown]
	v_add_f64 v[0:1], v[0:1], v[146:147]
	v_add_f64 v[2:3], v[2:3], v[144:145]
	v_mul_f64 v[4:5], v[222:223], s[18:19]
	v_mul_f64 v[6:7], v[220:221], s[18:19]
	v_add_f64 v[202:203], v[162:163], -v[186:187]
	v_mul_f64 v[12:13], v[222:223], s[20:21]
	v_mul_f64 v[14:15], v[220:221], s[20:21]
	;; [unrolled: 1-line block ×5, first 2 shown]
	s_mov_b32 s2, 0x370991
	s_mov_b32 s8, 0x910ea3b9
	;; [unrolled: 1-line block ×12, first 2 shown]
	v_add_f64 v[0:1], v[0:1], v[150:151]
	v_add_f64 v[2:3], v[2:3], v[148:149]
	v_mul_f64 v[30:31], v[214:215], s[38:39]
	v_fma_f64 v[18:19], v[216:217], s[0:1], -v[6:7]
	v_fma_f64 v[6:7], v[216:217], s[0:1], v[6:7]
	v_mul_f64 v[34:35], v[210:211], s[38:39]
	v_mul_f64 v[36:37], v[214:215], s[44:45]
	v_fma_f64 v[38:39], v[218:219], s[8:9], v[12:13]
	v_mul_f64 v[40:41], v[210:211], s[44:45]
	v_fma_f64 v[42:43], v[216:217], s[8:9], -v[14:15]
	v_fma_f64 v[12:13], v[218:219], s[8:9], -v[12:13]
	v_fma_f64 v[14:15], v[216:217], s[8:9], v[14:15]
	v_fma_f64 v[46:47], v[218:219], s[10:11], v[20:21]
	v_fma_f64 v[48:49], v[216:217], s[10:11], -v[22:23]
	v_fma_f64 v[20:21], v[218:219], s[10:11], -v[20:21]
	s_mov_b32 s26, 0x2b2883cd
	s_mov_b32 s28, 0xc61f0d01
	;; [unrolled: 1-line block ×7, first 2 shown]
	v_add_f64 v[0:1], v[0:1], v[154:155]
	v_add_f64 v[2:3], v[2:3], v[152:153]
	s_mov_b32 s40, s30
	v_add_f64 v[18:19], v[136:137], v[18:19]
	v_add_f64 v[206:207], v[152:153], -v[164:165]
	v_add_f64 v[204:205], v[154:155], -v[166:167]
	v_add_f64 v[6:7], v[136:137], v[6:7]
	v_fma_f64 v[22:23], v[216:217], s[10:11], v[22:23]
	v_add_f64 v[38:39], v[138:139], v[38:39]
	v_add_f64 v[42:43], v[136:137], v[42:43]
	;; [unrolled: 1-line block ×7, first 2 shown]
	s_mov_b32 s22, 0x2a9d6da3
	s_mov_b32 s34, 0x3259b75e
	;; [unrolled: 1-line block ×6, first 2 shown]
	v_add_f64 v[192:193], v[174:175], v[178:179]
	v_add_f64 v[0:1], v[0:1], v[162:163]
	;; [unrolled: 1-line block ×3, first 2 shown]
	s_mov_b32 s36, 0x75d4884
	s_mov_b32 s37, 0x3fe7a5f6
	;; [unrolled: 1-line block ×5, first 2 shown]
	v_add_f64 v[22:23], v[136:137], v[22:23]
	s_mov_b32 s52, s22
	s_mov_b32 s51, 0xbfeca52d
	;; [unrolled: 1-line block ×3, first 2 shown]
	v_mov_b32_e32 v88, v243
	v_add_f64 v[0:1], v[0:1], v[170:171]
	v_add_f64 v[2:3], v[2:3], v[168:169]
	;; [unrolled: 1-line block ×10, first 2 shown]
	v_add_f64 v[174:175], v[174:175], -v[178:179]
	v_add_f64 v[0:1], v[0:1], v[178:179]
	v_add_f64 v[2:3], v[2:3], v[176:177]
	;; [unrolled: 1-line block ×8, first 2 shown]
	v_add_f64 v[190:191], v[170:171], -v[190:191]
	v_add_f64 v[188:189], v[160:161], -v[184:185]
	v_add_f64 v[170:171], v[162:163], v[186:187]
	v_add_f64 v[160:161], v[160:161], v[184:185]
	;; [unrolled: 1-line block ×9, first 2 shown]
	v_fma_f64 v[52:53], v[186:187], s[26:27], v[30:31]
	v_fma_f64 v[44:45], v[184:185], s[2:3], -v[16:17]
	v_fma_f64 v[16:17], v[184:185], s[2:3], v[16:17]
	v_fma_f64 v[30:31], v[186:187], s[26:27], -v[30:31]
	v_add_f64 v[38:39], v[52:53], v[38:39]
	v_add_f64 v[18:19], v[44:45], v[18:19]
	v_fma_f64 v[44:45], v[186:187], s[28:29], v[36:37]
	v_fma_f64 v[36:37], v[186:187], s[28:29], -v[36:37]
	v_add_f64 v[6:7], v[16:17], v[6:7]
	v_add_f64 v[12:13], v[30:31], v[12:13]
	;; [unrolled: 1-line block ×4, first 2 shown]
	v_mul_f64 v[36:37], v[204:205], s[22:23]
	s_waitcnt vmcnt(2)
	v_add_f64 v[212:213], v[148:149], -v[8:9]
	s_waitcnt vmcnt(0)
	v_add_f64 v[208:209], v[150:151], -v[10:11]
	v_add_f64 v[182:183], v[150:151], v[10:11]
	v_add_f64 v[180:181], v[148:149], v[8:9]
	;; [unrolled: 1-line block ×4, first 2 shown]
	v_mul_f64 v[8:9], v[214:215], s[16:17]
	v_fma_f64 v[10:11], v[218:219], s[0:1], v[4:5]
	v_fma_f64 v[4:5], v[218:219], s[0:1], -v[4:5]
	v_mul_f64 v[26:27], v[212:213], s[20:21]
	v_mul_f64 v[28:29], v[208:209], s[20:21]
	;; [unrolled: 1-line block ×4, first 2 shown]
	v_add_f64 v[0:1], v[0:1], v[250:251]
	v_add_f64 v[24:25], v[2:3], v[248:249]
	v_fma_f64 v[32:33], v[186:187], s[2:3], v[8:9]
	v_add_f64 v[10:11], v[138:139], v[10:11]
	v_fma_f64 v[8:9], v[186:187], s[2:3], -v[8:9]
	v_add_f64 v[4:5], v[138:139], v[4:5]
	v_mul_f64 v[30:31], v[208:209], s[46:47]
	v_fma_f64 v[52:53], v[182:183], s[8:9], v[26:27]
	v_fma_f64 v[26:27], v[182:183], s[8:9], -v[26:27]
	v_add_f64 v[2:3], v[0:1], v[246:247]
	v_add_f64 v[0:1], v[24:25], v[244:245]
	v_mul_f64 v[24:25], v[212:213], s[40:41]
	v_add_f64 v[10:11], v[32:33], v[10:11]
	v_fma_f64 v[32:33], v[184:185], s[26:27], -v[34:35]
	v_fma_f64 v[34:35], v[184:185], s[26:27], v[34:35]
	v_add_f64 v[4:5], v[8:9], v[4:5]
	v_fma_f64 v[8:9], v[184:185], s[28:29], -v[40:41]
	v_fma_f64 v[40:41], v[184:185], s[28:29], v[40:41]
	buffer_store_dword v0, off, s[60:63], 0 ; 4-byte Folded Spill
	buffer_store_dword v1, off, s[60:63], 0 offset:4 ; 4-byte Folded Spill
	buffer_store_dword v2, off, s[60:63], 0 offset:8 ; 4-byte Folded Spill
	;; [unrolled: 1-line block ×3, first 2 shown]
	v_fma_f64 v[46:47], v[182:183], s[34:35], v[24:25]
	v_fma_f64 v[24:25], v[182:183], s[34:35], -v[24:25]
	v_add_f64 v[32:33], v[32:33], v[42:43]
	v_fma_f64 v[42:43], v[180:181], s[8:9], -v[28:29]
	v_add_f64 v[14:15], v[34:35], v[14:15]
	v_mul_f64 v[34:35], v[206:207], s[22:23]
	v_fma_f64 v[28:29], v[180:181], s[8:9], v[28:29]
	v_add_f64 v[8:9], v[8:9], v[48:49]
	v_fma_f64 v[48:49], v[180:181], s[34:35], -v[50:51]
	v_add_f64 v[22:23], v[40:41], v[22:23]
	v_mul_f64 v[40:41], v[206:207], s[48:49]
	v_fma_f64 v[50:51], v[180:181], s[34:35], v[50:51]
	v_add_f64 v[10:11], v[52:53], v[10:11]
	v_fma_f64 v[52:53], v[182:183], s[2:3], v[16:17]
	v_add_f64 v[4:5], v[26:27], v[4:5]
	v_mul_f64 v[26:27], v[204:205], s[48:49]
	v_fma_f64 v[16:17], v[182:183], s[2:3], -v[16:17]
	v_mul_f64 v[2:3], v[188:189], s[22:23]
	v_add_f64 v[38:39], v[46:47], v[38:39]
	v_add_f64 v[12:13], v[24:25], v[12:13]
	v_mul_f64 v[24:25], v[204:205], s[20:21]
	v_add_f64 v[18:19], v[42:43], v[18:19]
	v_fma_f64 v[42:43], v[180:181], s[2:3], -v[30:31]
	v_fma_f64 v[30:31], v[180:181], s[2:3], v[30:31]
	v_add_f64 v[6:7], v[28:29], v[6:7]
	v_mul_f64 v[28:29], v[206:207], s[20:21]
	v_fma_f64 v[46:47], v[178:179], s[36:37], v[34:35]
	v_add_f64 v[32:33], v[48:49], v[32:33]
	v_fma_f64 v[48:49], v[162:163], s[36:37], -v[36:37]
	v_fma_f64 v[34:35], v[178:179], s[36:37], -v[34:35]
	v_add_f64 v[14:15], v[50:51], v[14:15]
	v_mul_f64 v[50:51], v[188:189], s[24:25]
	v_fma_f64 v[36:37], v[162:163], s[36:37], v[36:37]
	v_add_f64 v[44:45], v[52:53], v[44:45]
	v_fma_f64 v[52:53], v[178:179], s[10:11], v[40:41]
	v_add_f64 v[16:17], v[16:17], v[20:21]
	v_mul_f64 v[20:21], v[202:203], s[24:25]
	v_fma_f64 v[40:41], v[178:179], s[10:11], -v[40:41]
	v_add_f64 v[8:9], v[42:43], v[8:9]
	v_fma_f64 v[42:43], v[162:163], s[10:11], -v[26:27]
	v_add_f64 v[22:23], v[30:31], v[22:23]
	v_mul_f64 v[30:31], v[188:189], s[46:47]
	v_fma_f64 v[26:27], v[162:163], s[10:11], v[26:27]
	v_add_f64 v[10:11], v[46:47], v[10:11]
	v_fma_f64 v[46:47], v[178:179], s[8:9], v[28:29]
	v_add_f64 v[18:19], v[48:49], v[18:19]
	v_fma_f64 v[48:49], v[162:163], s[8:9], -v[24:25]
	v_add_f64 v[4:5], v[34:35], v[4:5]
	v_mul_f64 v[34:35], v[202:203], s[46:47]
	v_fma_f64 v[28:29], v[178:179], s[8:9], -v[28:29]
	v_add_f64 v[6:7], v[36:37], v[6:7]
	v_mul_f64 v[36:37], v[188:189], s[30:31]
	v_fma_f64 v[24:25], v[162:163], s[8:9], v[24:25]
	v_add_f64 v[38:39], v[52:53], v[38:39]
	v_fma_f64 v[52:53], v[170:171], s[10:11], v[50:51]
	v_add_f64 v[12:13], v[40:41], v[12:13]
	v_mul_f64 v[40:41], v[202:203], s[30:31]
	v_fma_f64 v[50:51], v[170:171], s[10:11], -v[50:51]
	v_add_f64 v[32:33], v[42:43], v[32:33]
	v_fma_f64 v[42:43], v[160:161], s[10:11], -v[20:21]
	v_fma_f64 v[20:21], v[160:161], s[10:11], v[20:21]
	v_add_f64 v[14:15], v[26:27], v[14:15]
	v_mul_f64 v[26:27], v[200:201], s[38:39]
	v_add_f64 v[44:45], v[46:47], v[44:45]
	v_fma_f64 v[46:47], v[170:171], s[2:3], v[30:31]
	v_add_f64 v[8:9], v[48:49], v[8:9]
	v_fma_f64 v[30:31], v[170:171], s[2:3], -v[30:31]
	v_fma_f64 v[48:49], v[160:161], s[2:3], -v[34:35]
	v_add_f64 v[16:17], v[28:29], v[16:17]
	v_mul_f64 v[28:29], v[190:191], s[38:39]
	v_fma_f64 v[34:35], v[160:161], s[2:3], v[34:35]
	v_add_f64 v[22:23], v[24:25], v[22:23]
	v_mul_f64 v[24:25], v[200:201], s[18:19]
	v_add_f64 v[10:11], v[52:53], v[10:11]
	v_fma_f64 v[52:53], v[170:171], s[34:35], v[36:37]
	v_fma_f64 v[36:37], v[170:171], s[34:35], -v[36:37]
	v_add_f64 v[4:5], v[50:51], v[4:5]
	v_mul_f64 v[50:51], v[190:191], s[18:19]
	v_add_f64 v[18:19], v[42:43], v[18:19]
	v_fma_f64 v[42:43], v[160:161], s[34:35], -v[40:41]
	v_add_f64 v[6:7], v[20:21], v[6:7]
	v_mul_f64 v[20:21], v[200:201], s[52:53]
	v_fma_f64 v[40:41], v[160:161], s[34:35], v[40:41]
	v_add_f64 v[38:39], v[46:47], v[38:39]
	v_fma_f64 v[46:47], v[176:177], s[26:27], v[26:27]
	v_add_f64 v[12:13], v[30:31], v[12:13]
	v_add_f64 v[32:33], v[48:49], v[32:33]
	v_mul_f64 v[30:31], v[190:191], s[52:53]
	v_fma_f64 v[48:49], v[168:169], s[26:27], -v[28:29]
	v_fma_f64 v[26:27], v[176:177], s[26:27], -v[26:27]
	v_add_f64 v[14:15], v[34:35], v[14:15]
	v_mul_f64 v[34:35], v[198:199], s[42:43]
	v_fma_f64 v[28:29], v[168:169], s[26:27], v[28:29]
	v_add_f64 v[44:45], v[52:53], v[44:45]
	v_fma_f64 v[52:53], v[176:177], s[0:1], v[24:25]
	v_add_f64 v[16:17], v[36:37], v[16:17]
	v_mul_f64 v[36:37], v[196:197], s[42:43]
	v_fma_f64 v[24:25], v[176:177], s[0:1], -v[24:25]
	v_add_f64 v[8:9], v[42:43], v[8:9]
	v_fma_f64 v[42:43], v[168:169], s[0:1], -v[50:51]
	v_fma_f64 v[50:51], v[168:169], s[0:1], v[50:51]
	v_add_f64 v[22:23], v[40:41], v[22:23]
	v_mul_f64 v[40:41], v[198:199], s[22:23]
	v_add_f64 v[10:11], v[46:47], v[10:11]
	v_fma_f64 v[46:47], v[176:177], s[36:37], v[20:21]
	v_fma_f64 v[20:21], v[176:177], s[36:37], -v[20:21]
	v_add_f64 v[18:19], v[48:49], v[18:19]
	v_fma_f64 v[48:49], v[168:169], s[36:37], -v[30:31]
	v_add_f64 v[4:5], v[26:27], v[4:5]
	v_mul_f64 v[26:27], v[196:197], s[22:23]
	v_add_f64 v[6:7], v[28:29], v[6:7]
	v_mul_f64 v[28:29], v[198:199], s[18:19]
	v_fma_f64 v[30:31], v[168:169], s[36:37], v[30:31]
	v_add_f64 v[38:39], v[52:53], v[38:39]
	v_fma_f64 v[52:53], v[158:159], s[28:29], v[34:35]
	v_add_f64 v[12:13], v[24:25], v[12:13]
	v_mul_f64 v[24:25], v[196:197], s[18:19]
	v_fma_f64 v[34:35], v[158:159], s[28:29], -v[34:35]
	v_add_f64 v[32:33], v[42:43], v[32:33]
	v_fma_f64 v[42:43], v[156:157], s[28:29], -v[36:37]
	v_fma_f64 v[36:37], v[156:157], s[28:29], v[36:37]
	v_add_f64 v[14:15], v[50:51], v[14:15]
	v_fma_f64 v[50:51], v[158:159], s[36:37], v[40:41]
	v_fma_f64 v[40:41], v[158:159], s[36:37], -v[40:41]
	v_add_f64 v[16:17], v[20:21], v[16:17]
	v_mul_f64 v[20:21], v[174:175], s[30:31]
	v_add_f64 v[44:45], v[46:47], v[44:45]
	v_add_f64 v[8:9], v[48:49], v[8:9]
	v_mul_f64 v[46:47], v[194:195], s[30:31]
	v_fma_f64 v[48:49], v[156:157], s[36:37], -v[26:27]
	v_fma_f64 v[26:27], v[156:157], s[36:37], v[26:27]
	v_add_f64 v[22:23], v[30:31], v[22:23]
	v_mul_f64 v[30:31], v[194:195], s[42:43]
	v_add_f64 v[10:11], v[52:53], v[10:11]
	v_mul_f64 v[52:53], v[174:175], s[42:43]
	;; [unrolled: 2-line block ×3, first 2 shown]
	v_add_f64 v[18:19], v[42:43], v[18:19]
	v_fma_f64 v[42:43], v[158:159], s[0:1], v[28:29]
	v_add_f64 v[36:37], v[36:37], v[6:7]
	v_fma_f64 v[6:7], v[156:157], s[0:1], -v[24:25]
	v_fma_f64 v[28:29], v[158:159], s[0:1], -v[28:29]
	v_fma_f64 v[24:25], v[156:157], s[0:1], v[24:25]
	v_add_f64 v[12:13], v[40:41], v[12:13]
	v_fma_f64 v[40:41], v[172:173], s[34:35], -v[20:21]
	v_fma_f64 v[20:21], v[172:173], s[34:35], v[20:21]
	v_add_f64 v[38:39], v[50:51], v[38:39]
	v_add_f64 v[32:33], v[48:49], v[32:33]
	v_mul_f64 v[48:49], v[174:175], s[38:39]
	v_add_f64 v[14:15], v[26:27], v[14:15]
	v_fma_f64 v[50:51], v[192:193], s[34:35], v[46:47]
	v_fma_f64 v[26:27], v[192:193], s[28:29], v[30:31]
	v_fma_f64 v[30:31], v[192:193], s[28:29], -v[30:31]
	v_fma_f64 v[46:47], v[192:193], s[34:35], -v[46:47]
	v_fma_f64 v[56:57], v[192:193], s[26:27], v[4:5]
	v_add_f64 v[42:43], v[42:43], v[44:45]
	v_fma_f64 v[44:45], v[172:173], s[28:29], -v[52:53]
	v_fma_f64 v[52:53], v[172:173], s[28:29], v[52:53]
	v_add_f64 v[54:55], v[6:7], v[8:9]
	v_add_f64 v[16:17], v[28:29], v[16:17]
	;; [unrolled: 1-line block ×3, first 2 shown]
	v_fma_f64 v[24:25], v[192:193], s[26:27], -v[4:5]
	v_add_f64 v[4:5], v[40:41], v[18:19]
	v_mul_f64 v[40:41], v[222:223], s[40:41]
	v_add_f64 v[140:141], v[20:21], v[36:37]
	v_fma_f64 v[28:29], v[172:173], s[26:27], -v[48:49]
	v_mul_f64 v[36:37], v[222:223], s[46:47]
	v_add_f64 v[6:7], v[50:51], v[10:11]
	v_mul_f64 v[20:21], v[222:223], s[52:53]
	v_add_f64 v[150:151], v[30:31], v[12:13]
	v_add_f64 v[10:11], v[26:27], v[38:39]
	v_fma_f64 v[48:49], v[172:173], s[26:27], v[48:49]
	v_mul_f64 v[26:27], v[220:221], s[42:43]
	v_mul_f64 v[12:13], v[220:221], s[40:41]
	v_add_f64 v[142:143], v[46:47], v[34:35]
	v_mul_f64 v[18:19], v[222:223], s[42:43]
	v_mul_f64 v[34:35], v[222:223], s[50:51]
	v_add_f64 v[146:147], v[56:57], v[42:43]
	v_add_f64 v[8:9], v[44:45], v[32:33]
	;; [unrolled: 1-line block ×3, first 2 shown]
	v_mul_f64 v[52:53], v[214:215], s[52:53]
	v_mul_f64 v[14:15], v[220:221], s[50:51]
	v_add_f64 v[154:155], v[24:25], v[16:17]
	v_mul_f64 v[24:25], v[220:221], s[46:47]
	v_fma_f64 v[30:31], v[218:219], s[34:35], -v[40:41]
	v_mul_f64 v[16:17], v[220:221], s[52:53]
	v_add_f64 v[144:145], v[28:29], v[54:55]
	v_fma_f64 v[28:29], v[218:219], s[34:35], v[40:41]
	v_fma_f64 v[40:41], v[218:219], s[2:3], -v[36:37]
	v_fma_f64 v[38:39], v[218:219], s[36:37], -v[20:21]
	v_fma_f64 v[20:21], v[218:219], s[36:37], v[20:21]
	v_fma_f64 v[36:37], v[218:219], s[2:3], v[36:37]
	v_add_f64 v[152:153], v[48:49], v[22:23]
	v_fma_f64 v[42:43], v[216:217], s[28:29], -v[26:27]
	v_fma_f64 v[26:27], v[216:217], s[28:29], v[26:27]
	v_fma_f64 v[44:45], v[216:217], s[34:35], -v[12:13]
	v_fma_f64 v[12:13], v[216:217], s[34:35], v[12:13]
	v_fma_f64 v[22:23], v[218:219], s[28:29], v[18:19]
	v_fma_f64 v[18:19], v[218:219], s[28:29], -v[18:19]
	v_fma_f64 v[32:33], v[218:219], s[26:27], v[34:35]
	v_fma_f64 v[34:35], v[218:219], s[26:27], -v[34:35]
	v_fma_f64 v[54:55], v[186:187], s[36:37], -v[52:53]
	;; [unrolled: 1-line block ×3, first 2 shown]
	v_fma_f64 v[14:15], v[216:217], s[26:27], v[14:15]
	v_fma_f64 v[50:51], v[216:217], s[2:3], v[24:25]
	v_fma_f64 v[24:25], v[216:217], s[2:3], -v[24:25]
	v_fma_f64 v[48:49], v[216:217], s[36:37], v[16:17]
	v_fma_f64 v[16:17], v[216:217], s[36:37], -v[16:17]
	v_add_f64 v[28:29], v[138:139], v[28:29]
	v_add_f64 v[40:41], v[138:139], v[40:41]
	;; [unrolled: 1-line block ×4, first 2 shown]
	buffer_store_dword v0, off, s[60:63], 0 offset:404 ; 4-byte Folded Spill
	buffer_store_dword v1, off, s[60:63], 0 offset:408 ; 4-byte Folded Spill
	v_add_f64 v[40:41], v[54:55], v[40:41]
	v_mul_f64 v[54:55], v[210:211], s[52:53]
	v_add_f64 v[50:51], v[136:137], v[50:51]
	v_add_f64 v[0:1], v[136:137], v[16:17]
	buffer_store_dword v0, off, s[60:63], 0 offset:412 ; 4-byte Folded Spill
	buffer_store_dword v1, off, s[60:63], 0 offset:416 ; 4-byte Folded Spill
	v_fma_f64 v[56:57], v[184:185], s[36:37], v[54:55]
	v_add_f64 v[0:1], v[138:139], v[36:37]
	buffer_store_dword v0, off, s[60:63], 0 offset:396 ; 4-byte Folded Spill
	buffer_store_dword v1, off, s[60:63], 0 offset:400 ; 4-byte Folded Spill
	v_add_f64 v[50:51], v[56:57], v[50:51]
	v_mul_f64 v[56:57], v[212:213], s[50:51]
	v_add_f64 v[42:43], v[136:137], v[42:43]
	v_add_f64 v[26:27], v[136:137], v[26:27]
	;; [unrolled: 1-line block ×13, first 2 shown]
	buffer_store_dword v0, off, s[60:63], 0 offset:388 ; 4-byte Folded Spill
	buffer_store_dword v1, off, s[60:63], 0 offset:392 ; 4-byte Folded Spill
	v_fma_f64 v[58:59], v[182:183], s[26:27], -v[56:57]
	v_add_f64 v[40:41], v[58:59], v[40:41]
	v_mul_f64 v[58:59], v[208:209], s[50:51]
	v_fma_f64 v[60:61], v[180:181], s[26:27], v[58:59]
	v_add_f64 v[50:51], v[60:61], v[50:51]
	v_mul_f64 v[60:61], v[206:207], s[40:41]
	v_fma_f64 v[62:63], v[178:179], s[34:35], -v[60:61]
	v_add_f64 v[40:41], v[62:63], v[40:41]
	v_mul_f64 v[62:63], v[204:205], s[40:41]
	v_fma_f64 v[136:137], v[162:163], s[34:35], v[62:63]
	v_add_f64 v[50:51], v[136:137], v[50:51]
	v_mul_f64 v[136:137], v[188:189], s[42:43]
	v_fma_f64 v[138:139], v[170:171], s[28:29], -v[136:137]
	v_add_f64 v[40:41], v[138:139], v[40:41]
	v_mul_f64 v[138:139], v[202:203], s[42:43]
	s_mov_b32 s43, 0x3fe0d888
	s_mov_b32 s42, s20
	v_fma_f64 v[164:165], v[160:161], s[28:29], v[138:139]
	v_add_f64 v[50:51], v[164:165], v[50:51]
	v_mul_f64 v[164:165], v[200:201], s[24:25]
	v_fma_f64 v[166:167], v[176:177], s[10:11], -v[164:165]
	v_add_f64 v[40:41], v[166:167], v[40:41]
	v_mul_f64 v[166:167], v[190:191], s[24:25]
	v_fma_f64 v[216:217], v[168:169], s[10:11], v[166:167]
	v_add_f64 v[50:51], v[216:217], v[50:51]
	v_mul_f64 v[216:217], v[198:199], s[20:21]
	v_fma_f64 v[218:219], v[158:159], s[8:9], -v[216:217]
	v_add_f64 v[89:90], v[218:219], v[40:41]
	v_mul_f64 v[218:219], v[196:197], s[20:21]
	v_fma_f64 v[220:221], v[156:157], s[8:9], v[218:219]
	v_add_f64 v[0:1], v[220:221], v[50:51]
	v_mul_f64 v[220:221], v[214:215], s[40:41]
	buffer_store_dword v0, off, s[60:63], 0 offset:364 ; 4-byte Folded Spill
	buffer_store_dword v1, off, s[60:63], 0 offset:368 ; 4-byte Folded Spill
	v_fma_f64 v[222:223], v[186:187], s[34:35], -v[220:221]
	v_add_f64 v[38:39], v[222:223], v[38:39]
	v_mul_f64 v[222:223], v[210:211], s[40:41]
	v_fma_f64 v[227:228], v[184:185], s[34:35], v[222:223]
	v_add_f64 v[48:49], v[227:228], v[48:49]
	v_mul_f64 v[227:228], v[212:213], s[24:25]
	v_fma_f64 v[229:230], v[182:183], s[10:11], -v[227:228]
	v_add_f64 v[38:39], v[229:230], v[38:39]
	v_mul_f64 v[229:230], v[208:209], s[24:25]
	v_fma_f64 v[231:232], v[180:181], s[10:11], v[229:230]
	v_add_f64 v[48:49], v[231:232], v[48:49]
	v_mul_f64 v[231:232], v[206:207], s[18:19]
	;; [unrolled: 6-line block ×5, first 2 shown]
	v_fma_f64 v[247:248], v[158:159], s[26:27], -v[245:246]
	v_add_f64 v[0:1], v[247:248], v[38:39]
	v_mul_f64 v[247:248], v[196:197], s[38:39]
	buffer_store_dword v0, off, s[60:63], 0 offset:372 ; 4-byte Folded Spill
	buffer_store_dword v1, off, s[60:63], 0 offset:376 ; 4-byte Folded Spill
	v_fma_f64 v[249:250], v[156:157], s[26:27], v[247:248]
	s_mov_b32 s39, 0x3fc7851a
	s_mov_b32 s38, s18
	v_add_f64 v[0:1], v[249:250], v[48:49]
	v_mul_f64 v[249:250], v[214:215], s[24:25]
	buffer_store_dword v0, off, s[60:63], 0 offset:380 ; 4-byte Folded Spill
	buffer_store_dword v1, off, s[60:63], 0 offset:384 ; 4-byte Folded Spill
	v_fma_f64 v[251:252], v[186:187], s[10:11], -v[249:250]
	v_add_f64 v[34:35], v[251:252], v[34:35]
	v_mul_f64 v[251:252], v[212:213], s[38:39]
	v_fma_f64 v[253:254], v[182:183], s[0:1], -v[251:252]
	v_add_f64 v[34:35], v[253:254], v[34:35]
	v_mul_f64 v[253:254], v[210:211], s[24:25]
	v_fma_f64 v[40:41], v[184:185], s[10:11], v[253:254]
	v_add_f64 v[14:15], v[40:41], v[14:15]
	v_mul_f64 v[40:41], v[206:207], s[44:45]
	v_fma_f64 v[50:51], v[178:179], s[28:29], -v[40:41]
	v_fma_f64 v[40:41], v[178:179], s[28:29], v[40:41]
	v_add_f64 v[34:35], v[50:51], v[34:35]
	v_mul_f64 v[50:51], v[208:209], s[38:39]
	v_fma_f64 v[0:1], v[180:181], s[0:1], v[50:51]
	v_add_f64 v[0:1], v[0:1], v[14:15]
	v_fma_f64 v[14:15], v[170:171], s[36:37], -v[2:3]
	v_fma_f64 v[2:3], v[170:171], s[36:37], v[2:3]
	v_add_f64 v[14:15], v[14:15], v[34:35]
	v_mul_f64 v[34:35], v[204:205], s[44:45]
	v_fma_f64 v[38:39], v[162:163], s[28:29], v[34:35]
	v_fma_f64 v[34:35], v[162:163], s[28:29], -v[34:35]
	v_add_f64 v[0:1], v[38:39], v[0:1]
	v_mul_f64 v[38:39], v[200:201], s[46:47]
	v_fma_f64 v[48:49], v[176:177], s[2:3], -v[38:39]
	v_fma_f64 v[38:39], v[176:177], s[2:3], v[38:39]
	v_add_f64 v[14:15], v[48:49], v[14:15]
	v_mul_f64 v[48:49], v[202:203], s[22:23]
	v_fma_f64 v[24:25], v[160:161], s[36:37], v[48:49]
	v_add_f64 v[0:1], v[24:25], v[0:1]
	v_mul_f64 v[24:25], v[190:191], s[46:47]
	v_fma_f64 v[36:37], v[168:169], s[2:3], v[24:25]
	v_fma_f64 v[24:25], v[168:169], s[2:3], -v[24:25]
	v_add_f64 v[0:1], v[36:37], v[0:1]
	v_mul_f64 v[36:37], v[198:199], s[40:41]
	v_fma_f64 v[16:17], v[158:159], s[34:35], -v[36:37]
	v_fma_f64 v[36:37], v[158:159], s[34:35], v[36:37]
	v_add_f64 v[20:21], v[16:17], v[14:15]
	v_mul_f64 v[14:15], v[196:197], s[40:41]
	v_fma_f64 v[16:17], v[156:157], s[34:35], v[14:15]
	v_fma_f64 v[14:15], v[156:157], s[34:35], -v[14:15]
	v_add_f64 v[0:1], v[16:17], v[0:1]
	v_mul_f64 v[16:17], v[214:215], s[18:19]
	v_fma_f64 v[64:65], v[186:187], s[0:1], -v[16:17]
	v_add_f64 v[30:31], v[64:65], v[30:31]
	v_mul_f64 v[64:65], v[212:213], s[44:45]
	v_mul_f64 v[212:213], v[212:213], s[22:23]
	v_fma_f64 v[66:67], v[182:183], s[28:29], -v[64:65]
	v_add_f64 v[30:31], v[66:67], v[30:31]
	v_mul_f64 v[66:67], v[210:211], s[18:19]
	v_mul_f64 v[210:211], v[210:211], s[42:43]
	v_fma_f64 v[68:69], v[184:185], s[0:1], v[66:67]
	v_add_f64 v[12:13], v[68:69], v[12:13]
	v_mul_f64 v[68:69], v[206:207], s[16:17]
	v_mul_f64 v[206:207], v[206:207], s[50:51]
	v_fma_f64 v[70:71], v[178:179], s[2:3], -v[68:69]
	v_add_f64 v[30:31], v[70:71], v[30:31]
	v_mul_f64 v[70:71], v[208:209], s[44:45]
	v_fma_f64 v[72:73], v[180:181], s[28:29], v[70:71]
	v_add_f64 v[12:13], v[72:73], v[12:13]
	v_mul_f64 v[72:73], v[188:189], s[50:51]
	v_mul_f64 v[188:189], v[188:189], s[18:19]
	v_fma_f64 v[74:75], v[170:171], s[26:27], -v[72:73]
	v_add_f64 v[30:31], v[74:75], v[30:31]
	v_mul_f64 v[74:75], v[204:205], s[16:17]
	v_mul_f64 v[204:205], v[204:205], s[50:51]
	v_fma_f64 v[76:77], v[162:163], s[2:3], v[74:75]
	v_add_f64 v[12:13], v[76:77], v[12:13]
	v_mul_f64 v[76:77], v[200:201], s[20:21]
	v_mul_f64 v[200:201], v[200:201], s[30:31]
	v_fma_f64 v[78:79], v[176:177], s[8:9], -v[76:77]
	v_add_f64 v[30:31], v[78:79], v[30:31]
	v_mul_f64 v[78:79], v[202:203], s[50:51]
	;; [unrolled: 8-line block ×3, first 2 shown]
	v_mul_f64 v[190:191], v[190:191], s[30:31]
	v_fma_f64 v[84:85], v[168:169], s[8:9], v[82:83]
	v_add_f64 v[12:13], v[84:85], v[12:13]
	v_mul_f64 v[84:85], v[196:197], s[48:49]
	v_mul_f64 v[196:197], v[196:197], s[46:47]
	v_fma_f64 v[86:87], v[156:157], s[10:11], v[84:85]
	v_add_f64 v[86:87], v[86:87], v[12:13]
	v_mul_f64 v[12:13], v[214:215], s[42:43]
	v_fma_f64 v[214:215], v[186:187], s[8:9], -v[12:13]
	v_fma_f64 v[12:13], v[186:187], s[8:9], v[12:13]
	v_add_f64 v[18:19], v[214:215], v[18:19]
	v_fma_f64 v[214:215], v[182:183], s[36:37], -v[212:213]
	v_add_f64 v[12:13], v[12:13], v[22:23]
	v_fma_f64 v[22:23], v[182:183], s[36:37], v[212:213]
	v_add_f64 v[18:19], v[214:215], v[18:19]
	v_fma_f64 v[214:215], v[178:179], s[26:27], -v[206:207]
	v_add_f64 v[12:13], v[22:23], v[12:13]
	v_fma_f64 v[22:23], v[184:185], s[8:9], -v[210:211]
	;; [unrolled: 2-line block ×3, first 2 shown]
	v_add_f64 v[22:23], v[22:23], v[42:43]
	v_add_f64 v[18:19], v[214:215], v[18:19]
	v_fma_f64 v[214:215], v[176:177], s[34:35], -v[200:201]
	v_add_f64 v[18:19], v[214:215], v[18:19]
	v_fma_f64 v[214:215], v[184:185], s[8:9], v[210:211]
	v_add_f64 v[26:27], v[214:215], v[26:27]
	v_fma_f64 v[214:215], v[158:159], s[2:3], -v[198:199]
	v_add_f64 v[214:215], v[214:215], v[18:19]
	v_mul_f64 v[18:19], v[208:209], s[22:23]
	v_fma_f64 v[208:209], v[180:181], s[36:37], v[18:19]
	v_fma_f64 v[18:19], v[180:181], s[36:37], -v[18:19]
	v_add_f64 v[26:27], v[208:209], v[26:27]
	v_fma_f64 v[208:209], v[162:163], s[26:27], v[204:205]
	v_add_f64 v[18:19], v[18:19], v[22:23]
	v_fma_f64 v[22:23], v[170:171], s[0:1], v[188:189]
	;; [unrolled: 2-line block ×7, first 2 shown]
	v_add_f64 v[12:13], v[22:23], v[12:13]
	v_fma_f64 v[22:23], v[162:163], s[26:27], -v[204:205]
	v_add_f64 v[18:19], v[22:23], v[18:19]
	v_fma_f64 v[22:23], v[176:177], s[34:35], v[200:201]
	v_add_f64 v[12:13], v[22:23], v[12:13]
	v_fma_f64 v[22:23], v[160:161], s[0:1], -v[202:203]
	v_add_f64 v[18:19], v[22:23], v[18:19]
	v_fma_f64 v[22:23], v[158:159], s[2:3], v[198:199]
	v_add_f64 v[42:43], v[22:23], v[12:13]
	v_fma_f64 v[12:13], v[168:169], s[34:35], -v[190:191]
	v_fma_f64 v[22:23], v[184:185], s[10:11], -v[253:254]
	v_add_f64 v[12:13], v[12:13], v[18:19]
	v_fma_f64 v[18:19], v[156:157], s[2:3], -v[196:197]
	v_add_f64 v[22:23], v[22:23], v[46:47]
	v_fma_f64 v[46:47], v[182:183], s[26:27], v[56:57]
	v_mul_f64 v[56:57], v[194:195], s[20:21]
	v_add_f64 v[188:189], v[18:19], v[12:13]
	v_fma_f64 v[12:13], v[186:187], s[0:1], v[16:17]
	v_fma_f64 v[16:17], v[184:185], s[0:1], -v[66:67]
	v_fma_f64 v[18:19], v[182:183], s[28:29], v[64:65]
	v_fma_f64 v[66:67], v[156:157], s[10:11], -v[84:85]
	v_mul_f64 v[64:65], v[194:195], s[24:25]
	v_add_f64 v[12:13], v[12:13], v[28:29]
	v_add_f64 v[16:17], v[16:17], v[44:45]
	v_fma_f64 v[28:29], v[186:187], s[36:37], v[52:53]
	v_fma_f64 v[44:45], v[184:185], s[36:37], -v[54:55]
	v_fma_f64 v[52:53], v[180:181], s[26:27], -v[58:59]
	;; [unrolled: 1-line block ×4, first 2 shown]
	v_fma_f64 v[64:65], v[192:193], s[10:11], v[64:65]
	v_add_f64 v[12:13], v[18:19], v[12:13]
	v_fma_f64 v[18:19], v[180:181], s[28:29], -v[70:71]
	v_fma_f64 v[70:71], v[158:159], s[26:27], v[245:246]
	v_add_f64 v[16:17], v[18:19], v[16:17]
	v_fma_f64 v[18:19], v[178:179], s[2:3], v[68:69]
	v_mul_f64 v[68:69], v[174:175], s[24:25]
	v_add_f64 v[12:13], v[18:19], v[12:13]
	v_fma_f64 v[18:19], v[162:163], s[2:3], -v[74:75]
	v_fma_f64 v[74:75], v[158:159], s[8:9], v[216:217]
	v_add_f64 v[16:17], v[18:19], v[16:17]
	v_fma_f64 v[18:19], v[170:171], s[26:27], v[72:73]
	v_fma_f64 v[72:73], v[156:157], s[26:27], -v[247:248]
	v_add_f64 v[12:13], v[18:19], v[12:13]
	v_fma_f64 v[18:19], v[160:161], s[26:27], -v[78:79]
	v_fma_f64 v[78:79], v[156:157], s[8:9], -v[218:219]
	v_add_f64 v[16:17], v[18:19], v[16:17]
	v_fma_f64 v[18:19], v[176:177], s[8:9], v[76:77]
	v_add_f64 v[12:13], v[18:19], v[12:13]
	v_fma_f64 v[18:19], v[168:169], s[8:9], -v[82:83]
	v_add_f64 v[16:17], v[18:19], v[16:17]
	v_fma_f64 v[18:19], v[186:187], s[10:11], v[249:250]
	v_add_f64 v[66:67], v[66:67], v[16:17]
	v_add_f64 v[18:19], v[18:19], v[32:33]
	v_fma_f64 v[32:33], v[184:185], s[34:35], -v[222:223]
	v_add_f64 v[18:19], v[26:27], v[18:19]
	v_fma_f64 v[26:27], v[180:181], s[0:1], -v[50:51]
	v_add_f64 v[18:19], v[40:41], v[18:19]
	s_clause 0x1
	buffer_load_dword v40, off, s[60:63], 0 offset:404
	buffer_load_dword v41, off, s[60:63], 0 offset:408
	v_add_f64 v[22:23], v[26:27], v[22:23]
	v_fma_f64 v[26:27], v[186:187], s[34:35], v[220:221]
	v_add_f64 v[2:3], v[2:3], v[18:19]
	v_add_f64 v[22:23], v[34:35], v[22:23]
	v_fma_f64 v[34:35], v[178:179], s[0:1], v[231:232]
	v_add_f64 v[2:3], v[38:39], v[2:3]
	v_mul_f64 v[38:39], v[174:175], s[16:17]
	v_add_f64 v[2:3], v[36:37], v[2:3]
	v_fma_f64 v[76:77], v[172:173], s[2:3], v[38:39]
	v_fma_f64 v[36:37], v[172:173], s[10:11], v[68:69]
	v_fma_f64 v[68:69], v[172:173], s[10:11], -v[68:69]
	v_fma_f64 v[156:157], v[172:173], s[2:3], -v[38:39]
	s_waitcnt vmcnt(0)
	v_add_f64 v[26:27], v[26:27], v[40:41]
	s_clause 0x5
	buffer_load_dword v40, off, s[60:63], 0 offset:412
	buffer_load_dword v41, off, s[60:63], 0 offset:416
	;; [unrolled: 1-line block ×6, first 2 shown]
	s_waitcnt vmcnt(4)
	v_add_f64 v[32:33], v[32:33], v[40:41]
	s_waitcnt vmcnt(2)
	v_add_f64 v[28:29], v[28:29], v[50:51]
	v_fma_f64 v[50:51], v[180:181], s[10:11], -v[229:230]
	v_fma_f64 v[40:41], v[182:183], s[10:11], v[227:228]
	s_waitcnt vmcnt(0)
	v_add_f64 v[44:45], v[44:45], v[54:55]
	v_fma_f64 v[54:55], v[176:177], s[10:11], v[164:165]
	v_add_f64 v[28:29], v[46:47], v[28:29]
	v_add_f64 v[32:33], v[50:51], v[32:33]
	v_fma_f64 v[50:51], v[162:163], s[34:35], -v[62:63]
	v_fma_f64 v[62:63], v[158:159], s[10:11], v[80:81]
	v_add_f64 v[26:27], v[40:41], v[26:27]
	v_fma_f64 v[46:47], v[162:163], s[0:1], -v[233:234]
	v_fma_f64 v[40:41], v[178:179], s[34:35], v[60:61]
	v_add_f64 v[44:45], v[52:53], v[44:45]
	v_mul_f64 v[52:53], v[194:195], s[16:17]
	v_mul_f64 v[60:61], v[194:195], s[22:23]
	v_add_f64 v[62:63], v[62:63], v[12:13]
	s_clause 0x3
	buffer_load_dword v12, off, s[60:63], 0 offset:364
	buffer_load_dword v13, off, s[60:63], 0 offset:368
	;; [unrolled: 1-line block ×4, first 2 shown]
	v_add_f64 v[18:19], v[34:35], v[26:27]
	v_add_f64 v[26:27], v[46:47], v[32:33]
	v_fma_f64 v[32:33], v[170:171], s[8:9], v[236:237]
	v_fma_f64 v[46:47], v[160:161], s[8:9], -v[238:239]
	v_fma_f64 v[34:35], v[170:171], s[28:29], v[136:137]
	v_add_f64 v[28:29], v[40:41], v[28:29]
	v_fma_f64 v[40:41], v[160:161], s[36:37], -v[48:49]
	v_fma_f64 v[48:49], v[160:161], s[28:29], -v[138:139]
	v_add_f64 v[44:45], v[50:51], v[44:45]
	v_mul_f64 v[50:51], v[174:175], s[18:19]
	v_add_f64 v[18:19], v[32:33], v[18:19]
	v_fma_f64 v[32:33], v[176:177], s[28:29], v[240:241]
	v_add_f64 v[26:27], v[46:47], v[26:27]
	v_fma_f64 v[46:47], v[168:169], s[28:29], -v[243:244]
	v_add_f64 v[22:23], v[40:41], v[22:23]
	v_add_f64 v[28:29], v[34:35], v[28:29]
	v_add_f64 v[44:45], v[48:49], v[44:45]
	v_mul_f64 v[40:41], v[194:195], s[18:19]
	v_mul_f64 v[34:35], v[174:175], s[20:21]
	;; [unrolled: 1-line block ×3, first 2 shown]
	v_fma_f64 v[160:161], v[172:173], s[0:1], -v[50:51]
	v_mov_b32_e32 v243, v88
	v_add_f64 v[18:19], v[32:33], v[18:19]
	v_fma_f64 v[32:33], v[172:173], s[0:1], v[50:51]
	v_add_f64 v[26:27], v[46:47], v[26:27]
	v_fma_f64 v[46:47], v[192:193], s[2:3], -v[52:53]
	v_add_f64 v[22:23], v[24:25], v[22:23]
	v_add_f64 v[28:29], v[54:55], v[28:29]
	v_fma_f64 v[54:55], v[192:193], s[8:9], -v[56:57]
	v_fma_f64 v[52:53], v[192:193], s[2:3], v[52:53]
	v_add_f64 v[44:45], v[58:59], v[44:45]
	v_fma_f64 v[24:25], v[192:193], s[0:1], -v[40:41]
	v_fma_f64 v[80:81], v[172:173], s[8:9], v[34:35]
	v_fma_f64 v[58:59], v[192:193], s[36:37], -v[60:61]
	v_fma_f64 v[82:83], v[172:173], s[36:37], v[48:49]
	v_fma_f64 v[60:61], v[192:193], s[36:37], v[60:61]
	v_fma_f64 v[48:49], v[172:173], s[36:37], -v[48:49]
	v_fma_f64 v[56:57], v[192:193], s[8:9], v[56:57]
	v_fma_f64 v[138:139], v[172:173], s[8:9], -v[34:35]
	v_fma_f64 v[158:159], v[192:193], s[0:1], v[40:41]
	v_add_f64 v[34:35], v[64:65], v[42:43]
	v_add_f64 v[70:71], v[70:71], v[18:19]
	;; [unrolled: 1-line block ×13, first 2 shown]
	v_mul_lo_u16 v0, v242, 17
	v_mov_b32_e32 v1, 4
	v_add_f64 v[38:39], v[60:61], v[62:63]
	v_add_f64 v[36:37], v[48:49], v[66:67]
	v_add_f64 v[42:43], v[56:57], v[2:3]
	v_lshlrev_b32_sdwa v0, v1, v0 dst_sel:DWORD dst_unused:UNUSED_PAD src0_sel:DWORD src1_sel:WORD_0
	v_add_f64 v[44:45], v[156:157], v[72:73]
	v_add_f64 v[40:41], v[138:139], v[136:137]
	v_add_f64 v[50:51], v[158:159], v[74:75]
	v_add_f64 v[48:49], v[160:161], v[78:79]
	s_waitcnt vmcnt(2)
	v_add_f64 v[12:13], v[32:33], v[12:13]
	s_waitcnt vmcnt(0)
	v_add_f64 v[18:19], v[46:47], v[16:17]
	s_clause 0x1
	buffer_load_dword v16, off, s[60:63], 0 offset:380
	buffer_load_dword v17, off, s[60:63], 0 offset:384
	v_add_f64 v[46:47], v[52:53], v[70:71]
	s_clause 0x3
	buffer_load_dword v52, off, s[60:63], 0
	buffer_load_dword v53, off, s[60:63], 0 offset:4
	buffer_load_dword v54, off, s[60:63], 0 offset:8
	;; [unrolled: 1-line block ×3, first 2 shown]
	v_add_f64 v[32:33], v[68:69], v[188:189]
	s_waitcnt vmcnt(4)
	v_add_f64 v[16:17], v[76:77], v[16:17]
	s_waitcnt vmcnt(0)
	ds_write_b128 v0, v[52:55]
	ds_write_b128 v0, v[12:15] offset:16
	ds_write_b128 v0, v[16:19] offset:32
	;; [unrolled: 1-line block ×16, first 2 shown]
.LBB0_13:
	s_or_b32 exec_lo, exec_lo, s33
	s_waitcnt lgkmcnt(0)
	s_waitcnt_vscnt null, 0x0
	s_barrier
	buffer_gl0_inv
	ds_read_b128 v[0:3], v225 offset:13328
	ds_read_b128 v[4:7], v225 offset:15232
	ds_read_b128 v[8:11], v225 offset:17136
	ds_read_b128 v[12:15], v225 offset:19040
	ds_read_b128 v[16:19], v225 offset:20944
	ds_read_b128 v[20:23], v225 offset:22848
	ds_read_b128 v[24:27], v225 offset:24752
	ds_read_b128 v[28:31], v225 offset:11424
	s_clause 0x7
	buffer_load_dword v84, off, s[60:63], 0 offset:32
	buffer_load_dword v85, off, s[60:63], 0 offset:36
	;; [unrolled: 1-line block ×8, first 2 shown]
	s_mov_b32 s2, 0x37e14327
	s_mov_b32 s0, 0x36b3c0b5
	;; [unrolled: 1-line block ×20, first 2 shown]
	s_waitcnt vmcnt(4) lgkmcnt(7)
	v_mul_f64 v[52:53], v[86:87], v[2:3]
	v_mul_f64 v[54:55], v[86:87], v[0:1]
	s_clause 0x7
	buffer_load_dword v86, off, s[60:63], 0 offset:48
	buffer_load_dword v87, off, s[60:63], 0 offset:52
	;; [unrolled: 1-line block ×8, first 2 shown]
	s_waitcnt vmcnt(8) lgkmcnt(6)
	v_mul_f64 v[56:57], v[82:83], v[6:7]
	v_mul_f64 v[58:59], v[82:83], v[4:5]
	v_fma_f64 v[0:1], v[84:85], v[0:1], v[52:53]
	v_fma_f64 v[2:3], v[84:85], v[2:3], -v[54:55]
	v_fma_f64 v[4:5], v[80:81], v[4:5], v[56:57]
	v_fma_f64 v[6:7], v[80:81], v[6:7], -v[58:59]
	s_waitcnt vmcnt(4) lgkmcnt(5)
	v_mul_f64 v[60:61], v[88:89], v[10:11]
	v_mul_f64 v[62:63], v[88:89], v[8:9]
	s_waitcnt vmcnt(0) lgkmcnt(4)
	v_mul_f64 v[64:65], v[146:147], v[14:15]
	v_mul_f64 v[66:67], v[146:147], v[12:13]
	s_clause 0xb
	buffer_load_dword v146, off, s[60:63], 0 offset:112
	buffer_load_dword v147, off, s[60:63], 0 offset:116
	;; [unrolled: 1-line block ×12, first 2 shown]
	ds_read_b128 v[32:35], v225
	ds_read_b128 v[36:39], v225 offset:1904
	ds_read_b128 v[40:43], v225 offset:3808
	;; [unrolled: 1-line block ×5, first 2 shown]
	s_waitcnt vmcnt(0) lgkmcnt(0)
	s_barrier
	buffer_gl0_inv
	buffer_load_dword v52, off, s[60:63], 0 offset:332 ; 4-byte Folded Reload
	v_add_f64 v[0:1], v[32:33], -v[0:1]
	v_add_f64 v[2:3], v[34:35], -v[2:3]
	v_add_f64 v[4:5], v[36:37], -v[4:5]
	v_add_f64 v[6:7], v[38:39], -v[6:7]
	v_fma_f64 v[8:9], v[86:87], v[8:9], v[60:61]
	v_fma_f64 v[10:11], v[86:87], v[10:11], -v[62:63]
	v_fma_f64 v[12:13], v[144:145], v[12:13], v[64:65]
	v_fma_f64 v[14:15], v[144:145], v[14:15], -v[66:67]
	v_fma_f64 v[32:33], v[32:33], 2.0, -v[0:1]
	v_fma_f64 v[34:35], v[34:35], 2.0, -v[2:3]
	;; [unrolled: 1-line block ×4, first 2 shown]
	v_add_f64 v[8:9], v[40:41], -v[8:9]
	v_add_f64 v[10:11], v[42:43], -v[10:11]
	;; [unrolled: 1-line block ×4, first 2 shown]
	s_waitcnt vmcnt(0)
	ds_write_b128 v52, v[0:3] offset:272
	ds_write_b128 v52, v[32:35]
	buffer_load_dword v0, off, s[60:63], 0 offset:344 ; 4-byte Folded Reload
	v_fma_f64 v[40:41], v[40:41], 2.0, -v[8:9]
	v_fma_f64 v[42:43], v[42:43], 2.0, -v[10:11]
	;; [unrolled: 1-line block ×4, first 2 shown]
	v_mul_f64 v[68:69], v[148:149], v[18:19]
	v_mul_f64 v[70:71], v[148:149], v[16:17]
	;; [unrolled: 1-line block ×6, first 2 shown]
	s_waitcnt vmcnt(0)
	ds_write_b128 v0, v[36:39]
	ds_write_b128 v0, v[4:7] offset:272
	buffer_load_dword v0, off, s[60:63], 0 offset:328 ; 4-byte Folded Reload
	v_fma_f64 v[16:17], v[146:147], v[16:17], v[68:69]
	v_fma_f64 v[18:19], v[146:147], v[18:19], -v[70:71]
	v_fma_f64 v[20:21], v[140:141], v[20:21], v[72:73]
	v_fma_f64 v[22:23], v[140:141], v[22:23], -v[74:75]
	;; [unrolled: 2-line block ×3, first 2 shown]
	s_waitcnt vmcnt(0)
	ds_write_b128 v0, v[40:43]
	ds_write_b128 v0, v[8:11] offset:272
	buffer_load_dword v0, off, s[60:63], 0 offset:324 ; 4-byte Folded Reload
	v_add_f64 v[16:17], v[48:49], -v[16:17]
	v_add_f64 v[18:19], v[50:51], -v[18:19]
	;; [unrolled: 1-line block ×6, first 2 shown]
	s_waitcnt vmcnt(0)
	ds_write_b128 v0, v[44:47]
	ds_write_b128 v0, v[12:15] offset:272
	buffer_load_dword v0, off, s[60:63], 0 offset:320 ; 4-byte Folded Reload
	v_fma_f64 v[48:49], v[48:49], 2.0, -v[16:17]
	v_fma_f64 v[50:51], v[50:51], 2.0, -v[18:19]
	;; [unrolled: 1-line block ×6, first 2 shown]
	s_waitcnt vmcnt(0)
	ds_write_b128 v0, v[48:51]
	ds_write_b128 v0, v[16:19] offset:272
	buffer_load_dword v0, off, s[60:63], 0 offset:340 ; 4-byte Folded Reload
	s_waitcnt vmcnt(0)
	ds_write_b128 v0, v[136:139]
	ds_write_b128 v0, v[20:23] offset:272
	buffer_load_dword v0, off, s[60:63], 0 offset:336 ; 4-byte Folded Reload
	s_waitcnt vmcnt(0)
	ds_write_b128 v0, v[28:31]
	ds_write_b128 v0, v[24:27] offset:272
	s_waitcnt lgkmcnt(0)
	s_barrier
	buffer_gl0_inv
	ds_read_b128 v[0:3], v225 offset:3808
	ds_read_b128 v[4:7], v225 offset:7616
	;; [unrolled: 1-line block ×10, first 2 shown]
	s_clause 0x7
	buffer_load_dword v146, off, s[60:63], 0 offset:208
	buffer_load_dword v147, off, s[60:63], 0 offset:212
	;; [unrolled: 1-line block ×8, first 2 shown]
	s_waitcnt vmcnt(4) lgkmcnt(9)
	v_mul_f64 v[48:49], v[148:149], v[2:3]
	v_mul_f64 v[50:51], v[148:149], v[0:1]
	s_waitcnt vmcnt(0) lgkmcnt(8)
	v_mul_f64 v[52:53], v[142:143], v[6:7]
	v_mul_f64 v[54:55], v[142:143], v[4:5]
	s_clause 0x7
	buffer_load_dword v148, off, s[60:63], 0 offset:224
	buffer_load_dword v149, off, s[60:63], 0 offset:228
	;; [unrolled: 1-line block ×8, first 2 shown]
	ds_read_b128 v[40:43], v225 offset:13328
	ds_read_b128 v[44:47], v225 offset:17136
	s_clause 0xb
	buffer_load_dword v88, off, s[60:63], 0 offset:128
	buffer_load_dword v89, off, s[60:63], 0 offset:132
	buffer_load_dword v90, off, s[60:63], 0 offset:136
	buffer_load_dword v91, off, s[60:63], 0 offset:140
	buffer_load_dword v136, off, s[60:63], 0 offset:144
	buffer_load_dword v137, off, s[60:63], 0 offset:148
	buffer_load_dword v138, off, s[60:63], 0 offset:152
	buffer_load_dword v139, off, s[60:63], 0 offset:156
	buffer_load_dword v154, off, s[60:63], 0 offset:256
	buffer_load_dword v155, off, s[60:63], 0 offset:260
	buffer_load_dword v156, off, s[60:63], 0 offset:264
	buffer_load_dword v157, off, s[60:63], 0 offset:268
	v_fma_f64 v[48:49], v[146:147], v[0:1], v[48:49]
	v_fma_f64 v[50:51], v[146:147], v[2:3], -v[50:51]
	v_fma_f64 v[52:53], v[140:141], v[4:5], v[52:53]
	v_fma_f64 v[54:55], v[140:141], v[6:7], -v[54:55]
	s_waitcnt vmcnt(16) lgkmcnt(9)
	v_mul_f64 v[56:57], v[150:151], v[10:11]
	v_mul_f64 v[58:59], v[150:151], v[8:9]
	s_clause 0x7
	buffer_load_dword v150, off, s[60:63], 0 offset:240
	buffer_load_dword v151, off, s[60:63], 0 offset:244
	;; [unrolled: 1-line block ×8, first 2 shown]
	s_waitcnt vmcnt(12) lgkmcnt(6)
	v_mul_f64 v[68:69], v[138:139], v[22:23]
	v_mul_f64 v[70:71], v[138:139], v[20:21]
	s_waitcnt vmcnt(8) lgkmcnt(5)
	v_mul_f64 v[72:73], v[156:157], v[26:27]
	v_mul_f64 v[74:75], v[156:157], v[24:25]
	s_clause 0x7
	buffer_load_dword v156, off, s[60:63], 0 offset:288
	buffer_load_dword v157, off, s[60:63], 0 offset:292
	;; [unrolled: 1-line block ×8, first 2 shown]
	v_mul_f64 v[60:61], v[144:145], v[14:15]
	v_mul_f64 v[62:63], v[144:145], v[12:13]
	;; [unrolled: 1-line block ×4, first 2 shown]
	v_fma_f64 v[8:9], v[148:149], v[8:9], v[56:57]
	v_fma_f64 v[10:11], v[148:149], v[10:11], -v[58:59]
	v_fma_f64 v[20:21], v[136:137], v[20:21], v[68:69]
	v_fma_f64 v[22:23], v[136:137], v[22:23], -v[70:71]
	;; [unrolled: 2-line block ×5, first 2 shown]
	v_add_f64 v[56:57], v[48:49], v[8:9]
	v_add_f64 v[58:59], v[50:51], v[10:11]
	v_add_f64 v[8:9], v[48:49], -v[8:9]
	v_add_f64 v[10:11], v[50:51], -v[10:11]
	v_add_f64 v[60:61], v[52:53], v[12:13]
	v_add_f64 v[62:63], v[54:55], v[14:15]
	;; [unrolled: 1-line block ×4, first 2 shown]
	v_add_f64 v[16:17], v[20:21], -v[16:17]
	v_add_f64 v[18:19], v[22:23], -v[18:19]
	v_add_f64 v[12:13], v[52:53], -v[12:13]
	v_add_f64 v[14:15], v[54:55], -v[14:15]
	v_add_f64 v[52:53], v[60:61], v[56:57]
	v_add_f64 v[54:55], v[62:63], v[58:59]
	;; [unrolled: 1-line block ×4, first 2 shown]
	v_add_f64 v[68:69], v[16:17], -v[12:13]
	v_add_f64 v[70:71], v[18:19], -v[14:15]
	;; [unrolled: 1-line block ×6, first 2 shown]
	v_add_f64 v[8:9], v[64:65], v[8:9]
	v_add_f64 v[10:11], v[66:67], v[10:11]
	v_mul_f64 v[64:65], v[68:69], s[10:11]
	v_mul_f64 v[66:67], v[70:71], s[10:11]
	;; [unrolled: 1-line block ×4, first 2 shown]
	v_fma_f64 v[12:13], v[12:13], s[8:9], -v[64:65]
	v_fma_f64 v[14:15], v[14:15], s[8:9], -v[66:67]
	s_waitcnt vmcnt(12) lgkmcnt(4)
	v_mul_f64 v[76:77], v[152:153], v[30:31]
	v_mul_f64 v[78:79], v[152:153], v[28:29]
	s_waitcnt vmcnt(8) lgkmcnt(3)
	v_mul_f64 v[80:81], v[162:163], v[34:35]
	v_mul_f64 v[82:83], v[162:163], v[32:33]
	s_waitcnt vmcnt(4) lgkmcnt(2)
	v_mul_f64 v[84:85], v[158:159], v[38:39]
	s_waitcnt vmcnt(0) lgkmcnt(1)
	v_mul_f64 v[0:1], v[140:141], v[42:43]
	v_mul_f64 v[2:3], v[140:141], v[40:41]
	s_clause 0x3
	buffer_load_dword v140, off, s[60:63], 0 offset:272
	buffer_load_dword v141, off, s[60:63], 0 offset:276
	;; [unrolled: 1-line block ×4, first 2 shown]
	v_mul_f64 v[86:87], v[158:159], v[36:37]
	v_fma_f64 v[28:29], v[150:151], v[28:29], v[76:77]
	v_fma_f64 v[30:31], v[150:151], v[30:31], -v[78:79]
	v_fma_f64 v[32:33], v[160:161], v[32:33], v[80:81]
	v_fma_f64 v[34:35], v[160:161], v[34:35], -v[82:83]
	v_fma_f64 v[36:37], v[156:157], v[36:37], v[84:85]
	v_fma_f64 v[40:41], v[138:139], v[40:41], v[0:1]
	v_fma_f64 v[42:43], v[138:139], v[42:43], -v[2:3]
	v_fma_f64 v[38:39], v[156:157], v[38:39], -v[86:87]
	v_add_f64 v[20:21], v[24:25], v[36:37]
	v_add_f64 v[24:25], v[24:25], -v[36:37]
	v_add_f64 v[36:37], v[28:29], v[32:33]
	v_add_f64 v[28:29], v[28:29], -v[32:33]
	;; [unrolled: 2-line block ×4, first 2 shown]
	v_add_f64 v[72:73], v[36:37], v[20:21]
	v_add_f64 v[74:75], v[38:39], v[22:23]
	s_waitcnt vmcnt(0) lgkmcnt(0)
	v_mul_f64 v[4:5], v[142:143], v[46:47]
	v_mul_f64 v[6:7], v[142:143], v[44:45]
	v_fma_f64 v[44:45], v[140:141], v[44:45], v[4:5]
	v_fma_f64 v[46:47], v[140:141], v[46:47], -v[6:7]
	ds_read_b128 v[0:3], v225
	ds_read_b128 v[4:7], v225 offset:1904
	s_waitcnt lgkmcnt(0)
	s_barrier
	buffer_gl0_inv
	v_add_f64 v[32:33], v[40:41], v[44:45]
	v_add_f64 v[34:35], v[42:43], v[46:47]
	v_add_f64 v[40:41], v[44:45], -v[40:41]
	v_add_f64 v[42:43], v[46:47], -v[42:43]
	;; [unrolled: 1-line block ×8, first 2 shown]
	v_add_f64 v[48:49], v[48:49], v[52:53]
	v_add_f64 v[50:51], v[50:51], v[54:55]
	v_add_f64 v[52:53], v[36:37], -v[20:21]
	v_add_f64 v[54:55], v[38:39], -v[22:23]
	;; [unrolled: 1-line block ×8, first 2 shown]
	v_add_f64 v[32:33], v[32:33], v[72:73]
	v_add_f64 v[34:35], v[34:35], v[74:75]
	;; [unrolled: 1-line block ×4, first 2 shown]
	v_add_f64 v[28:29], v[28:29], -v[24:25]
	v_add_f64 v[30:31], v[30:31], -v[26:27]
	v_mul_f64 v[56:57], v[56:57], s[2:3]
	v_mul_f64 v[58:59], v[58:59], s[2:3]
	v_add_f64 v[0:1], v[0:1], v[48:49]
	v_add_f64 v[2:3], v[2:3], v[50:51]
	v_mul_f64 v[72:73], v[60:61], s[0:1]
	v_mul_f64 v[74:75], v[62:63], s[0:1]
	v_add_f64 v[40:41], v[24:25], -v[40:41]
	v_add_f64 v[42:43], v[26:27], -v[42:43]
	v_mul_f64 v[20:21], v[20:21], s[2:3]
	v_mul_f64 v[22:23], v[22:23], s[2:3]
	;; [unrolled: 1-line block ×4, first 2 shown]
	v_add_f64 v[4:5], v[4:5], v[32:33]
	v_add_f64 v[6:7], v[6:7], v[34:35]
	;; [unrolled: 1-line block ×4, first 2 shown]
	v_mul_f64 v[84:85], v[28:29], s[8:9]
	v_mul_f64 v[86:87], v[30:31], s[8:9]
	;; [unrolled: 1-line block ×4, first 2 shown]
	v_fma_f64 v[60:61], v[60:61], s[0:1], v[56:57]
	v_fma_f64 v[62:63], v[62:63], s[0:1], v[58:59]
	;; [unrolled: 1-line block ×4, first 2 shown]
	v_fma_f64 v[72:73], v[44:45], s[18:19], -v[72:73]
	v_fma_f64 v[74:75], v[46:47], s[18:19], -v[74:75]
	;; [unrolled: 1-line block ×4, first 2 shown]
	v_fma_f64 v[56:57], v[16:17], s[22:23], v[64:65]
	v_fma_f64 v[58:59], v[18:19], s[22:23], v[66:67]
	v_fma_f64 v[16:17], v[16:17], s[24:25], -v[68:69]
	v_fma_f64 v[18:19], v[18:19], s[24:25], -v[70:71]
	v_fma_f64 v[36:37], v[36:37], s[0:1], v[20:21]
	v_fma_f64 v[38:39], v[38:39], s[0:1], v[22:23]
	;; [unrolled: 1-line block ×6, first 2 shown]
	v_fma_f64 v[20:21], v[52:53], s[20:21], -v[20:21]
	v_fma_f64 v[22:23], v[54:55], s[20:21], -v[22:23]
	;; [unrolled: 1-line block ×8, first 2 shown]
	v_add_f64 v[52:53], v[60:61], v[48:49]
	v_add_f64 v[54:55], v[62:63], v[50:51]
	;; [unrolled: 1-line block ×6, first 2 shown]
	v_fma_f64 v[48:49], v[10:11], s[26:27], v[58:59]
	v_fma_f64 v[50:51], v[8:9], s[26:27], v[56:57]
	;; [unrolled: 1-line block ×6, first 2 shown]
	v_add_f64 v[76:77], v[36:37], v[32:33]
	v_add_f64 v[78:79], v[38:39], v[34:35]
	v_fma_f64 v[68:69], v[26:27], s[26:27], v[68:69]
	v_fma_f64 v[70:71], v[24:25], s[26:27], v[70:71]
	v_add_f64 v[80:81], v[20:21], v[32:33]
	v_add_f64 v[82:83], v[22:23], v[34:35]
	v_fma_f64 v[84:85], v[26:27], s[26:27], v[42:43]
	v_fma_f64 v[86:87], v[24:25], s[26:27], v[40:41]
	;; [unrolled: 4-line block ×3, first 2 shown]
	v_add_f64 v[8:9], v[48:49], v[52:53]
	v_add_f64 v[10:11], v[54:55], -v[50:51]
	v_add_f64 v[12:13], v[56:57], v[44:45]
	v_add_f64 v[14:15], v[46:47], -v[58:59]
	v_add_f64 v[16:17], v[60:61], -v[72:73]
	v_add_f64 v[18:19], v[74:75], v[62:63]
	v_add_f64 v[20:21], v[72:73], v[60:61]
	v_add_f64 v[22:23], v[62:63], -v[74:75]
	v_add_f64 v[24:25], v[44:45], -v[56:57]
	v_add_f64 v[26:27], v[58:59], v[46:47]
	v_add_f64 v[28:29], v[52:53], -v[48:49]
	v_add_f64 v[30:31], v[50:51], v[54:55]
	v_add_f64 v[32:33], v[68:69], v[76:77]
	v_add_f64 v[34:35], v[78:79], -v[70:71]
	v_add_f64 v[36:37], v[84:85], v[80:81]
	v_add_f64 v[38:39], v[82:83], -v[86:87]
	v_add_f64 v[40:41], v[64:65], -v[136:137]
	v_add_f64 v[42:43], v[138:139], v[66:67]
	v_add_f64 v[44:45], v[136:137], v[64:65]
	v_add_f64 v[46:47], v[66:67], -v[138:139]
	v_add_f64 v[48:49], v[80:81], -v[84:85]
	v_add_f64 v[50:51], v[86:87], v[82:83]
	v_add_f64 v[52:53], v[76:77], -v[68:69]
	v_add_f64 v[54:55], v[70:71], v[78:79]
	ds_write_b128 v235, v[0:3]
	ds_write_b128 v235, v[8:11] offset:544
	ds_write_b128 v235, v[12:15] offset:1088
	;; [unrolled: 1-line block ×6, first 2 shown]
	ds_write_b128 v224, v[4:7]
	ds_write_b128 v224, v[32:35] offset:544
	ds_write_b128 v224, v[36:39] offset:1088
	;; [unrolled: 1-line block ×6, first 2 shown]
	s_waitcnt lgkmcnt(0)
	s_barrier
	buffer_gl0_inv
	ds_read_b128 v[0:3], v225 offset:3808
	ds_read_b128 v[4:7], v225 offset:7616
	;; [unrolled: 1-line block ×12, first 2 shown]
	s_clause 0x3
	buffer_load_dword v80, off, s[60:63], 0 offset:348
	buffer_load_dword v81, off, s[60:63], 0 offset:352
	;; [unrolled: 1-line block ×4, first 2 shown]
	s_waitcnt lgkmcnt(11)
	v_mul_f64 v[48:49], v[106:107], v[2:3]
	v_mul_f64 v[50:51], v[106:107], v[0:1]
	s_waitcnt lgkmcnt(10)
	v_mul_f64 v[52:53], v[110:111], v[6:7]
	v_mul_f64 v[54:55], v[110:111], v[4:5]
	;; [unrolled: 3-line block ×8, first 2 shown]
	v_fma_f64 v[0:1], v[104:105], v[0:1], v[48:49]
	v_fma_f64 v[2:3], v[104:105], v[2:3], -v[50:51]
	v_fma_f64 v[4:5], v[108:109], v[4:5], v[52:53]
	v_fma_f64 v[6:7], v[108:109], v[6:7], -v[54:55]
	v_fma_f64 v[8:9], v[112:113], v[8:9], v[56:57]
	v_fma_f64 v[10:11], v[112:113], v[10:11], -v[58:59]
	v_fma_f64 v[12:13], v[100:101], v[12:13], v[60:61]
	v_fma_f64 v[14:15], v[100:101], v[14:15], -v[62:63]
	v_mul_f64 v[52:53], v[126:127], v[30:31]
	v_mul_f64 v[54:55], v[126:127], v[28:29]
	;; [unrolled: 1-line block ×6, first 2 shown]
	v_fma_f64 v[16:17], v[92:93], v[16:17], v[64:65]
	v_fma_f64 v[18:19], v[92:93], v[18:19], -v[66:67]
	v_fma_f64 v[20:21], v[96:97], v[20:21], v[68:69]
	v_fma_f64 v[22:23], v[96:97], v[22:23], -v[70:71]
	;; [unrolled: 2-line block ×4, first 2 shown]
	v_add_f64 v[64:65], v[0:1], v[8:9]
	v_add_f64 v[66:67], v[2:3], v[10:11]
	v_add_f64 v[68:69], v[4:5], v[12:13]
	v_add_f64 v[70:71], v[6:7], v[14:15]
	v_fma_f64 v[28:29], v[124:125], v[28:29], v[52:53]
	v_fma_f64 v[30:31], v[124:125], v[30:31], -v[54:55]
	v_fma_f64 v[36:37], v[132:133], v[36:37], v[56:57]
	v_fma_f64 v[38:39], v[132:133], v[38:39], -v[58:59]
	;; [unrolled: 2-line block ×3, first 2 shown]
	v_add_f64 v[12:13], v[4:5], -v[12:13]
	v_add_f64 v[14:15], v[6:7], -v[14:15]
	;; [unrolled: 1-line block ×4, first 2 shown]
	ds_read_b128 v[0:3], v225
	ds_read_b128 v[4:7], v225 offset:1904
	v_add_f64 v[60:61], v[40:41], v[44:45]
	v_add_f64 v[62:63], v[42:43], v[46:47]
	;; [unrolled: 1-line block ×4, first 2 shown]
	v_add_f64 v[72:73], v[68:69], -v[64:65]
	v_add_f64 v[74:75], v[70:71], -v[66:67]
	v_add_f64 v[56:57], v[28:29], v[32:33]
	v_add_f64 v[58:59], v[30:31], v[34:35]
	v_add_f64 v[28:29], v[28:29], -v[32:33]
	v_add_f64 v[30:31], v[30:31], -v[34:35]
	;; [unrolled: 1-line block ×4, first 2 shown]
	s_waitcnt vmcnt(0)
	v_mul_f64 v[48:49], v[82:83], v[26:27]
	v_mul_f64 v[50:51], v[82:83], v[24:25]
	v_fma_f64 v[24:25], v[80:81], v[24:25], v[48:49]
	v_fma_f64 v[26:27], v[80:81], v[26:27], -v[50:51]
	v_add_f64 v[48:49], v[16:17], v[20:21]
	v_add_f64 v[50:51], v[18:19], v[22:23]
	v_add_f64 v[16:17], v[20:21], -v[16:17]
	v_add_f64 v[18:19], v[22:23], -v[18:19]
	v_add_f64 v[20:21], v[24:25], v[36:37]
	v_add_f64 v[22:23], v[26:27], v[38:39]
	;; [unrolled: 1-line block ×4, first 2 shown]
	v_add_f64 v[64:65], v[64:65], -v[48:49]
	v_add_f64 v[66:67], v[66:67], -v[50:51]
	;; [unrolled: 1-line block ×4, first 2 shown]
	v_add_f64 v[68:69], v[16:17], v[12:13]
	v_add_f64 v[70:71], v[18:19], v[14:15]
	v_add_f64 v[76:77], v[16:17], -v[12:13]
	v_add_f64 v[78:79], v[18:19], -v[14:15]
	;; [unrolled: 1-line block ×8, first 2 shown]
	v_add_f64 v[80:81], v[56:57], v[20:21]
	v_add_f64 v[82:83], v[58:59], v[22:23]
	s_waitcnt lgkmcnt(1)
	v_add_f64 v[0:1], v[0:1], v[52:53]
	v_add_f64 v[2:3], v[2:3], v[54:55]
	v_mul_f64 v[36:37], v[64:65], s[2:3]
	v_mul_f64 v[38:39], v[66:67], s[2:3]
	;; [unrolled: 1-line block ×4, first 2 shown]
	v_add_f64 v[8:9], v[68:69], v[8:9]
	v_add_f64 v[10:11], v[70:71], v[10:11]
	v_mul_f64 v[44:45], v[76:77], s[10:11]
	v_mul_f64 v[46:47], v[78:79], s[10:11]
	v_add_f64 v[76:77], v[20:21], -v[60:61]
	v_add_f64 v[78:79], v[22:23], -v[62:63]
	;; [unrolled: 1-line block ×4, first 2 shown]
	v_mul_f64 v[64:65], v[12:13], s[8:9]
	v_mul_f64 v[66:67], v[14:15], s[8:9]
	v_add_f64 v[20:21], v[56:57], -v[20:21]
	v_add_f64 v[22:23], v[58:59], -v[22:23]
	v_add_f64 v[68:69], v[60:61], v[80:81]
	v_add_f64 v[70:71], v[62:63], v[82:83]
	v_add_f64 v[60:61], v[60:61], -v[56:57]
	v_add_f64 v[62:63], v[62:63], -v[58:59]
	;; [unrolled: 1-line block ×4, first 2 shown]
	v_fma_f64 v[52:53], v[52:53], s[16:17], v[0:1]
	v_fma_f64 v[54:55], v[54:55], s[16:17], v[2:3]
	;; [unrolled: 1-line block ×4, first 2 shown]
	v_fma_f64 v[40:41], v[72:73], s[18:19], -v[40:41]
	v_fma_f64 v[42:43], v[74:75], s[18:19], -v[42:43]
	;; [unrolled: 1-line block ×4, first 2 shown]
	v_add_f64 v[28:29], v[34:35], v[28:29]
	v_add_f64 v[30:31], v[32:33], v[30:31]
	v_mul_f64 v[56:57], v[76:77], s[2:3]
	v_mul_f64 v[58:59], v[78:79], s[2:3]
	v_add_f64 v[34:35], v[24:25], -v[34:35]
	v_add_f64 v[32:33], v[26:27], -v[32:33]
	v_fma_f64 v[88:89], v[16:17], s[22:23], v[44:45]
	v_fma_f64 v[90:91], v[18:19], s[22:23], v[46:47]
	s_waitcnt lgkmcnt(0)
	v_add_f64 v[4:5], v[4:5], v[68:69]
	v_add_f64 v[6:7], v[6:7], v[70:71]
	v_mul_f64 v[72:73], v[60:61], s[0:1]
	v_mul_f64 v[74:75], v[62:63], s[0:1]
	;; [unrolled: 1-line block ×6, first 2 shown]
	v_fma_f64 v[16:17], v[16:17], s[24:25], -v[64:65]
	v_fma_f64 v[18:19], v[18:19], s[24:25], -v[66:67]
	;; [unrolled: 1-line block ×4, first 2 shown]
	v_add_f64 v[44:45], v[48:49], v[52:53]
	v_add_f64 v[46:47], v[50:51], v[54:55]
	;; [unrolled: 1-line block ×4, first 2 shown]
	v_fma_f64 v[48:49], v[60:61], s[0:1], v[56:57]
	v_fma_f64 v[50:51], v[62:63], s[0:1], v[58:59]
	v_add_f64 v[40:41], v[40:41], v[52:53]
	v_add_f64 v[42:43], v[42:43], v[54:55]
	;; [unrolled: 1-line block ×4, first 2 shown]
	v_fma_f64 v[28:29], v[68:69], s[16:17], v[4:5]
	v_fma_f64 v[30:31], v[70:71], s[16:17], v[6:7]
	v_fma_f64 v[60:61], v[20:21], s[18:19], -v[72:73]
	v_fma_f64 v[62:63], v[22:23], s[18:19], -v[74:75]
	;; [unrolled: 1-line block ×4, first 2 shown]
	v_fma_f64 v[56:57], v[32:33], s[22:23], v[76:77]
	v_fma_f64 v[58:59], v[34:35], s[22:23], v[78:79]
	v_fma_f64 v[32:33], v[32:33], s[24:25], -v[80:81]
	v_fma_f64 v[34:35], v[34:35], s[24:25], -v[82:83]
	;; [unrolled: 1-line block ×4, first 2 shown]
	v_fma_f64 v[52:53], v[10:11], s[26:27], v[90:91]
	v_fma_f64 v[54:55], v[8:9], s[26:27], v[88:89]
	;; [unrolled: 1-line block ×6, first 2 shown]
	v_add_f64 v[76:77], v[48:49], v[28:29]
	v_add_f64 v[78:79], v[50:51], v[30:31]
	;; [unrolled: 1-line block ×6, first 2 shown]
	v_fma_f64 v[56:57], v[26:27], s[26:27], v[56:57]
	v_fma_f64 v[58:59], v[24:25], s[26:27], v[58:59]
	;; [unrolled: 1-line block ×6, first 2 shown]
	v_add_f64 v[8:9], v[52:53], v[44:45]
	v_add_f64 v[10:11], v[46:47], -v[54:55]
	v_add_f64 v[12:13], v[68:69], v[36:37]
	v_add_f64 v[14:15], v[38:39], -v[70:71]
	v_add_f64 v[16:17], v[40:41], -v[72:73]
	v_add_f64 v[18:19], v[74:75], v[42:43]
	v_add_f64 v[20:21], v[72:73], v[40:41]
	v_add_f64 v[22:23], v[42:43], -v[74:75]
	v_add_f64 v[24:25], v[36:37], -v[68:69]
	v_add_f64 v[26:27], v[70:71], v[38:39]
	v_add_f64 v[28:29], v[44:45], -v[52:53]
	v_add_f64 v[30:31], v[54:55], v[46:47]
	v_add_f64 v[32:33], v[56:57], v[76:77]
	v_add_f64 v[34:35], v[78:79], -v[58:59]
	v_add_f64 v[36:37], v[80:81], v[60:61]
	v_add_f64 v[38:39], v[62:63], -v[82:83]
	v_add_f64 v[40:41], v[48:49], -v[64:65]
	v_add_f64 v[42:43], v[66:67], v[50:51]
	v_add_f64 v[44:45], v[64:65], v[48:49]
	v_add_f64 v[46:47], v[50:51], -v[66:67]
	v_add_f64 v[48:49], v[60:61], -v[80:81]
	v_add_f64 v[50:51], v[82:83], v[62:63]
	v_add_f64 v[52:53], v[76:77], -v[56:57]
	v_add_f64 v[54:55], v[58:59], v[78:79]
	ds_write_b128 v225, v[0:3]
	ds_write_b128 v225, v[8:11] offset:3808
	ds_write_b128 v225, v[12:15] offset:7616
	;; [unrolled: 1-line block ×13, first 2 shown]
	s_waitcnt lgkmcnt(0)
	s_barrier
	buffer_gl0_inv
	s_and_b32 exec_lo, exec_lo, vcc_lo
	s_cbranch_execz .LBB0_15
; %bb.14:
	global_load_dwordx4 v[0:3], v255, s[12:13]
	ds_read_b128 v[4:7], v225
	ds_read_b128 v[8:11], v226 offset:1568
	v_mad_u64_u32 v[14:15], null, s6, v243, 0
	s_mov_b32 s0, 0xca869b81
	s_mov_b32 s1, 0x3f43ab2d
	s_mul_i32 s3, s4, 0x620
	s_waitcnt vmcnt(0) lgkmcnt(1)
	v_mul_f64 v[12:13], v[6:7], v[2:3]
	v_mul_f64 v[2:3], v[4:5], v[2:3]
	v_fma_f64 v[4:5], v[4:5], v[0:1], v[12:13]
	v_fma_f64 v[2:3], v[0:1], v[6:7], -v[2:3]
	v_mad_u64_u32 v[6:7], null, s4, v242, 0
	v_mov_b32_e32 v0, v15
	v_mov_b32_e32 v1, v7
	v_mad_u64_u32 v[12:13], null, s7, v243, v[0:1]
	v_mov_b32_e32 v15, v12
	v_mad_u64_u32 v[16:17], null, s5, v242, v[1:2]
	v_mul_f64 v[0:1], v[4:5], s[0:1]
	v_mul_f64 v[2:3], v[2:3], s[0:1]
	v_lshlrev_b64 v[4:5], 4, v[14:15]
	v_mov_b32_e32 v7, v16
	v_add_co_u32 v4, vcc_lo, s14, v4
	v_add_co_ci_u32_e32 v5, vcc_lo, s15, v5, vcc_lo
	v_lshlrev_b64 v[6:7], 4, v[6:7]
	v_add_co_u32 v6, vcc_lo, v4, v6
	v_add_co_ci_u32_e32 v7, vcc_lo, v5, v7, vcc_lo
	v_add_co_u32 v14, vcc_lo, v6, s3
	global_store_dwordx4 v[6:7], v[0:3], off
	global_load_dwordx4 v[0:3], v255, s[12:13] offset:1568
	s_waitcnt vmcnt(0) lgkmcnt(0)
	v_mul_f64 v[4:5], v[10:11], v[2:3]
	v_mul_f64 v[2:3], v[8:9], v[2:3]
	v_fma_f64 v[4:5], v[8:9], v[0:1], v[4:5]
	v_fma_f64 v[0:1], v[0:1], v[10:11], -v[2:3]
	v_mul_f64 v[2:3], v[4:5], s[0:1]
	v_mul_f64 v[4:5], v[0:1], s[0:1]
	v_add_co_u32 v0, s2, s12, v255
	v_add_co_ci_u32_e64 v1, null, s13, 0, s2
	s_mul_i32 s2, s5, 0x620
	s_mul_hi_u32 s5, s4, 0x620
	s_add_i32 s2, s5, s2
	v_add_co_ci_u32_e32 v15, vcc_lo, s2, v7, vcc_lo
	v_add_co_u32 v6, vcc_lo, 0x800, v0
	v_add_co_ci_u32_e32 v7, vcc_lo, 0, v1, vcc_lo
	global_store_dwordx4 v[14:15], v[2:5], off
	global_load_dwordx4 v[2:5], v[6:7], off offset:1088
	ds_read_b128 v[6:9], v226 offset:3136
	ds_read_b128 v[10:13], v226 offset:4704
	s_waitcnt vmcnt(0) lgkmcnt(1)
	v_mul_f64 v[16:17], v[8:9], v[4:5]
	v_mul_f64 v[4:5], v[6:7], v[4:5]
	v_fma_f64 v[6:7], v[6:7], v[2:3], v[16:17]
	v_fma_f64 v[4:5], v[2:3], v[8:9], -v[4:5]
	v_mul_f64 v[2:3], v[6:7], s[0:1]
	v_mul_f64 v[4:5], v[4:5], s[0:1]
	v_add_co_u32 v6, vcc_lo, v14, s3
	v_add_co_ci_u32_e32 v7, vcc_lo, s2, v15, vcc_lo
	v_add_co_u32 v8, vcc_lo, 0x1000, v0
	v_add_co_ci_u32_e32 v9, vcc_lo, 0, v1, vcc_lo
	v_add_co_u32 v14, vcc_lo, v6, s3
	v_add_co_ci_u32_e32 v15, vcc_lo, s2, v7, vcc_lo
	v_add_co_u32 v16, vcc_lo, 0x1800, v0
	v_add_co_ci_u32_e32 v17, vcc_lo, 0, v1, vcc_lo
	global_store_dwordx4 v[6:7], v[2:5], off
	global_load_dwordx4 v[2:5], v[8:9], off offset:608
	s_waitcnt vmcnt(0) lgkmcnt(0)
	v_mul_f64 v[8:9], v[12:13], v[4:5]
	v_mul_f64 v[4:5], v[10:11], v[4:5]
	v_fma_f64 v[8:9], v[10:11], v[2:3], v[8:9]
	v_fma_f64 v[4:5], v[2:3], v[12:13], -v[4:5]
	v_mul_f64 v[2:3], v[8:9], s[0:1]
	v_mul_f64 v[4:5], v[4:5], s[0:1]
	global_store_dwordx4 v[14:15], v[2:5], off
	global_load_dwordx4 v[2:5], v[16:17], off offset:128
	ds_read_b128 v[6:9], v226 offset:6272
	ds_read_b128 v[10:13], v226 offset:7840
	s_waitcnt vmcnt(0) lgkmcnt(1)
	v_mul_f64 v[18:19], v[8:9], v[4:5]
	v_mul_f64 v[4:5], v[6:7], v[4:5]
	v_fma_f64 v[6:7], v[6:7], v[2:3], v[18:19]
	v_fma_f64 v[4:5], v[2:3], v[8:9], -v[4:5]
	v_mul_f64 v[2:3], v[6:7], s[0:1]
	v_mul_f64 v[4:5], v[4:5], s[0:1]
	v_add_co_u32 v6, vcc_lo, v14, s3
	v_add_co_ci_u32_e32 v7, vcc_lo, s2, v15, vcc_lo
	v_add_co_u32 v14, vcc_lo, v6, s3
	v_add_co_ci_u32_e32 v15, vcc_lo, s2, v7, vcc_lo
	global_store_dwordx4 v[6:7], v[2:5], off
	global_load_dwordx4 v[2:5], v[16:17], off offset:1696
	v_add_co_u32 v6, vcc_lo, 0x2000, v0
	v_add_co_ci_u32_e32 v7, vcc_lo, 0, v1, vcc_lo
	s_waitcnt vmcnt(0) lgkmcnt(0)
	v_mul_f64 v[8:9], v[12:13], v[4:5]
	v_mul_f64 v[4:5], v[10:11], v[4:5]
	v_fma_f64 v[8:9], v[10:11], v[2:3], v[8:9]
	v_fma_f64 v[4:5], v[2:3], v[12:13], -v[4:5]
	v_mul_f64 v[2:3], v[8:9], s[0:1]
	v_mul_f64 v[4:5], v[4:5], s[0:1]
	global_store_dwordx4 v[14:15], v[2:5], off
	global_load_dwordx4 v[2:5], v[6:7], off offset:1216
	ds_read_b128 v[6:9], v226 offset:9408
	ds_read_b128 v[10:13], v226 offset:10976
	s_waitcnt vmcnt(0) lgkmcnt(1)
	v_mul_f64 v[16:17], v[8:9], v[4:5]
	v_mul_f64 v[4:5], v[6:7], v[4:5]
	v_fma_f64 v[6:7], v[6:7], v[2:3], v[16:17]
	v_fma_f64 v[4:5], v[2:3], v[8:9], -v[4:5]
	v_mul_f64 v[2:3], v[6:7], s[0:1]
	v_mul_f64 v[4:5], v[4:5], s[0:1]
	v_add_co_u32 v6, vcc_lo, v14, s3
	v_add_co_ci_u32_e32 v7, vcc_lo, s2, v15, vcc_lo
	v_add_co_u32 v8, vcc_lo, 0x2800, v0
	v_add_co_ci_u32_e32 v9, vcc_lo, 0, v1, vcc_lo
	v_add_co_u32 v14, vcc_lo, v6, s3
	v_add_co_ci_u32_e32 v15, vcc_lo, s2, v7, vcc_lo
	v_add_co_u32 v16, vcc_lo, 0x3000, v0
	v_add_co_ci_u32_e32 v17, vcc_lo, 0, v1, vcc_lo
	global_store_dwordx4 v[6:7], v[2:5], off
	global_load_dwordx4 v[2:5], v[8:9], off offset:736
	s_waitcnt vmcnt(0) lgkmcnt(0)
	v_mul_f64 v[8:9], v[12:13], v[4:5]
	v_mul_f64 v[4:5], v[10:11], v[4:5]
	v_fma_f64 v[8:9], v[10:11], v[2:3], v[8:9]
	v_fma_f64 v[4:5], v[2:3], v[12:13], -v[4:5]
	v_mul_f64 v[2:3], v[8:9], s[0:1]
	v_mul_f64 v[4:5], v[4:5], s[0:1]
	global_store_dwordx4 v[14:15], v[2:5], off
	global_load_dwordx4 v[2:5], v[16:17], off offset:256
	ds_read_b128 v[6:9], v226 offset:12544
	ds_read_b128 v[10:13], v226 offset:14112
	s_waitcnt vmcnt(0) lgkmcnt(1)
	v_mul_f64 v[18:19], v[8:9], v[4:5]
	v_mul_f64 v[4:5], v[6:7], v[4:5]
	v_fma_f64 v[6:7], v[6:7], v[2:3], v[18:19]
	v_fma_f64 v[4:5], v[2:3], v[8:9], -v[4:5]
	v_mul_f64 v[2:3], v[6:7], s[0:1]
	v_mul_f64 v[4:5], v[4:5], s[0:1]
	v_add_co_u32 v6, vcc_lo, v14, s3
	v_add_co_ci_u32_e32 v7, vcc_lo, s2, v15, vcc_lo
	v_add_co_u32 v14, vcc_lo, v6, s3
	v_add_co_ci_u32_e32 v15, vcc_lo, s2, v7, vcc_lo
	global_store_dwordx4 v[6:7], v[2:5], off
	global_load_dwordx4 v[2:5], v[16:17], off offset:1824
	v_add_co_u32 v6, vcc_lo, 0x3800, v0
	v_add_co_ci_u32_e32 v7, vcc_lo, 0, v1, vcc_lo
	s_waitcnt vmcnt(0) lgkmcnt(0)
	v_mul_f64 v[8:9], v[12:13], v[4:5]
	v_mul_f64 v[4:5], v[10:11], v[4:5]
	v_fma_f64 v[8:9], v[10:11], v[2:3], v[8:9]
	v_fma_f64 v[4:5], v[2:3], v[12:13], -v[4:5]
	v_mul_f64 v[2:3], v[8:9], s[0:1]
	v_mul_f64 v[4:5], v[4:5], s[0:1]
	;; [unrolled: 54-line block ×3, first 2 shown]
	global_store_dwordx4 v[14:15], v[2:5], off
	global_load_dwordx4 v[2:5], v[6:7], off offset:1472
	ds_read_b128 v[6:9], v226 offset:21952
	ds_read_b128 v[10:13], v226 offset:23520
	s_waitcnt vmcnt(0) lgkmcnt(1)
	v_mul_f64 v[16:17], v[8:9], v[4:5]
	v_mul_f64 v[4:5], v[6:7], v[4:5]
	v_fma_f64 v[6:7], v[6:7], v[2:3], v[16:17]
	v_fma_f64 v[4:5], v[2:3], v[8:9], -v[4:5]
	v_mul_f64 v[2:3], v[6:7], s[0:1]
	v_mul_f64 v[4:5], v[4:5], s[0:1]
	v_add_co_u32 v6, vcc_lo, v14, s3
	v_add_co_ci_u32_e32 v7, vcc_lo, s2, v15, vcc_lo
	v_add_co_u32 v8, vcc_lo, 0x5800, v0
	v_add_co_ci_u32_e32 v9, vcc_lo, 0, v1, vcc_lo
	global_store_dwordx4 v[6:7], v[2:5], off
	global_load_dwordx4 v[2:5], v[8:9], off offset:992
	s_waitcnt vmcnt(0) lgkmcnt(0)
	v_mul_f64 v[8:9], v[12:13], v[4:5]
	v_mul_f64 v[4:5], v[10:11], v[4:5]
	v_fma_f64 v[8:9], v[10:11], v[2:3], v[8:9]
	v_fma_f64 v[4:5], v[2:3], v[12:13], -v[4:5]
	v_mul_f64 v[2:3], v[8:9], s[0:1]
	v_mul_f64 v[4:5], v[4:5], s[0:1]
	v_add_co_u32 v8, vcc_lo, v6, s3
	v_add_co_ci_u32_e32 v9, vcc_lo, s2, v7, vcc_lo
	v_add_co_u32 v0, vcc_lo, 0x6000, v0
	v_add_co_ci_u32_e32 v1, vcc_lo, 0, v1, vcc_lo
	global_store_dwordx4 v[8:9], v[2:5], off
	global_load_dwordx4 v[0:3], v[0:1], off offset:512
	ds_read_b128 v[4:7], v226 offset:25088
	s_waitcnt vmcnt(0) lgkmcnt(0)
	v_mul_f64 v[10:11], v[6:7], v[2:3]
	v_mul_f64 v[2:3], v[4:5], v[2:3]
	v_fma_f64 v[4:5], v[4:5], v[0:1], v[10:11]
	v_fma_f64 v[2:3], v[0:1], v[6:7], -v[2:3]
	v_mul_f64 v[0:1], v[4:5], s[0:1]
	v_mul_f64 v[2:3], v[2:3], s[0:1]
	v_add_co_u32 v4, vcc_lo, v8, s3
	v_add_co_ci_u32_e32 v5, vcc_lo, s2, v9, vcc_lo
	global_store_dwordx4 v[4:5], v[0:3], off
.LBB0_15:
	s_endpgm
	.section	.rodata,"a",@progbits
	.p2align	6, 0x0
	.amdhsa_kernel bluestein_single_back_len1666_dim1_dp_op_CI_CI
		.amdhsa_group_segment_fixed_size 26656
		.amdhsa_private_segment_fixed_size 424
		.amdhsa_kernarg_size 104
		.amdhsa_user_sgpr_count 6
		.amdhsa_user_sgpr_private_segment_buffer 1
		.amdhsa_user_sgpr_dispatch_ptr 0
		.amdhsa_user_sgpr_queue_ptr 0
		.amdhsa_user_sgpr_kernarg_segment_ptr 1
		.amdhsa_user_sgpr_dispatch_id 0
		.amdhsa_user_sgpr_flat_scratch_init 0
		.amdhsa_user_sgpr_private_segment_size 0
		.amdhsa_wavefront_size32 1
		.amdhsa_uses_dynamic_stack 0
		.amdhsa_system_sgpr_private_segment_wavefront_offset 1
		.amdhsa_system_sgpr_workgroup_id_x 1
		.amdhsa_system_sgpr_workgroup_id_y 0
		.amdhsa_system_sgpr_workgroup_id_z 0
		.amdhsa_system_sgpr_workgroup_info 0
		.amdhsa_system_vgpr_workitem_id 0
		.amdhsa_next_free_vgpr 256
		.amdhsa_next_free_sgpr 64
		.amdhsa_reserve_vcc 1
		.amdhsa_reserve_flat_scratch 0
		.amdhsa_float_round_mode_32 0
		.amdhsa_float_round_mode_16_64 0
		.amdhsa_float_denorm_mode_32 3
		.amdhsa_float_denorm_mode_16_64 3
		.amdhsa_dx10_clamp 1
		.amdhsa_ieee_mode 1
		.amdhsa_fp16_overflow 0
		.amdhsa_workgroup_processor_mode 1
		.amdhsa_memory_ordered 1
		.amdhsa_forward_progress 0
		.amdhsa_shared_vgpr_count 0
		.amdhsa_exception_fp_ieee_invalid_op 0
		.amdhsa_exception_fp_denorm_src 0
		.amdhsa_exception_fp_ieee_div_zero 0
		.amdhsa_exception_fp_ieee_overflow 0
		.amdhsa_exception_fp_ieee_underflow 0
		.amdhsa_exception_fp_ieee_inexact 0
		.amdhsa_exception_int_div_zero 0
	.end_amdhsa_kernel
	.text
.Lfunc_end0:
	.size	bluestein_single_back_len1666_dim1_dp_op_CI_CI, .Lfunc_end0-bluestein_single_back_len1666_dim1_dp_op_CI_CI
                                        ; -- End function
	.section	.AMDGPU.csdata,"",@progbits
; Kernel info:
; codeLenInByte = 30788
; NumSgprs: 66
; NumVgprs: 256
; ScratchSize: 424
; MemoryBound: 0
; FloatMode: 240
; IeeeMode: 1
; LDSByteSize: 26656 bytes/workgroup (compile time only)
; SGPRBlocks: 8
; VGPRBlocks: 31
; NumSGPRsForWavesPerEU: 66
; NumVGPRsForWavesPerEU: 256
; Occupancy: 4
; WaveLimiterHint : 1
; COMPUTE_PGM_RSRC2:SCRATCH_EN: 1
; COMPUTE_PGM_RSRC2:USER_SGPR: 6
; COMPUTE_PGM_RSRC2:TRAP_HANDLER: 0
; COMPUTE_PGM_RSRC2:TGID_X_EN: 1
; COMPUTE_PGM_RSRC2:TGID_Y_EN: 0
; COMPUTE_PGM_RSRC2:TGID_Z_EN: 0
; COMPUTE_PGM_RSRC2:TIDIG_COMP_CNT: 0
	.text
	.p2alignl 6, 3214868480
	.fill 48, 4, 3214868480
	.type	__hip_cuid_ea4b01d5a83e0fb,@object ; @__hip_cuid_ea4b01d5a83e0fb
	.section	.bss,"aw",@nobits
	.globl	__hip_cuid_ea4b01d5a83e0fb
__hip_cuid_ea4b01d5a83e0fb:
	.byte	0                               ; 0x0
	.size	__hip_cuid_ea4b01d5a83e0fb, 1

	.ident	"AMD clang version 19.0.0git (https://github.com/RadeonOpenCompute/llvm-project roc-6.4.0 25133 c7fe45cf4b819c5991fe208aaa96edf142730f1d)"
	.section	".note.GNU-stack","",@progbits
	.addrsig
	.addrsig_sym __hip_cuid_ea4b01d5a83e0fb
	.amdgpu_metadata
---
amdhsa.kernels:
  - .args:
      - .actual_access:  read_only
        .address_space:  global
        .offset:         0
        .size:           8
        .value_kind:     global_buffer
      - .actual_access:  read_only
        .address_space:  global
        .offset:         8
        .size:           8
        .value_kind:     global_buffer
      - .actual_access:  read_only
        .address_space:  global
        .offset:         16
        .size:           8
        .value_kind:     global_buffer
      - .actual_access:  read_only
        .address_space:  global
        .offset:         24
        .size:           8
        .value_kind:     global_buffer
      - .actual_access:  read_only
        .address_space:  global
        .offset:         32
        .size:           8
        .value_kind:     global_buffer
      - .offset:         40
        .size:           8
        .value_kind:     by_value
      - .address_space:  global
        .offset:         48
        .size:           8
        .value_kind:     global_buffer
      - .address_space:  global
        .offset:         56
        .size:           8
        .value_kind:     global_buffer
      - .address_space:  global
        .offset:         64
        .size:           8
        .value_kind:     global_buffer
      - .address_space:  global
        .offset:         72
        .size:           8
        .value_kind:     global_buffer
      - .offset:         80
        .size:           4
        .value_kind:     by_value
      - .address_space:  global
        .offset:         88
        .size:           8
        .value_kind:     global_buffer
      - .address_space:  global
        .offset:         96
        .size:           8
        .value_kind:     global_buffer
    .group_segment_fixed_size: 26656
    .kernarg_segment_align: 8
    .kernarg_segment_size: 104
    .language:       OpenCL C
    .language_version:
      - 2
      - 0
    .max_flat_workgroup_size: 119
    .name:           bluestein_single_back_len1666_dim1_dp_op_CI_CI
    .private_segment_fixed_size: 424
    .sgpr_count:     66
    .sgpr_spill_count: 0
    .symbol:         bluestein_single_back_len1666_dim1_dp_op_CI_CI.kd
    .uniform_work_group_size: 1
    .uses_dynamic_stack: false
    .vgpr_count:     256
    .vgpr_spill_count: 113
    .wavefront_size: 32
    .workgroup_processor_mode: 1
amdhsa.target:   amdgcn-amd-amdhsa--gfx1030
amdhsa.version:
  - 1
  - 2
...

	.end_amdgpu_metadata
